;; amdgpu-corpus repo=ROCm/rocFFT kind=compiled arch=gfx950 opt=O3
	.text
	.amdgcn_target "amdgcn-amd-amdhsa--gfx950"
	.amdhsa_code_object_version 6
	.protected	fft_rtc_fwd_len1920_factors_10_6_16_2_wgs_240_tpt_120_halfLds_dp_op_CI_CI_sbrr_dirReg ; -- Begin function fft_rtc_fwd_len1920_factors_10_6_16_2_wgs_240_tpt_120_halfLds_dp_op_CI_CI_sbrr_dirReg
	.globl	fft_rtc_fwd_len1920_factors_10_6_16_2_wgs_240_tpt_120_halfLds_dp_op_CI_CI_sbrr_dirReg
	.p2align	8
	.type	fft_rtc_fwd_len1920_factors_10_6_16_2_wgs_240_tpt_120_halfLds_dp_op_CI_CI_sbrr_dirReg,@function
fft_rtc_fwd_len1920_factors_10_6_16_2_wgs_240_tpt_120_halfLds_dp_op_CI_CI_sbrr_dirReg: ; @fft_rtc_fwd_len1920_factors_10_6_16_2_wgs_240_tpt_120_halfLds_dp_op_CI_CI_sbrr_dirReg
; %bb.0:
	s_load_dwordx4 s[12:15], s[0:1], 0x18
	s_load_dwordx4 s[8:11], s[0:1], 0x0
	;; [unrolled: 1-line block ×3, first 2 shown]
	v_mul_u32_u24_e32 v1, 0x223, v0
	v_lshrrev_b32_e32 v80, 16, v1
	s_waitcnt lgkmcnt(0)
	s_load_dwordx2 s[18:19], s[12:13], 0x0
	s_load_dwordx2 s[16:17], s[14:15], 0x0
	v_lshl_add_u32 v6, s2, 1, v80
	v_mov_b32_e32 v2, 0
	v_cmp_lt_u64_e64 s[2:3], s[10:11], 2
	v_mov_b32_e32 v7, v2
	s_and_b64 vcc, exec, s[2:3]
	v_mov_b64_e32 v[4:5], 0
	s_cbranch_vccnz .LBB0_8
; %bb.1:
	s_load_dwordx2 s[2:3], s[0:1], 0x10
	s_add_u32 s20, s14, 8
	s_addc_u32 s21, s15, 0
	s_add_u32 s22, s12, 8
	s_addc_u32 s23, s13, 0
	s_waitcnt lgkmcnt(0)
	s_add_u32 s24, s2, 8
	v_mov_b64_e32 v[4:5], 0
	s_addc_u32 s25, s3, 0
	s_mov_b64 s[26:27], 1
	v_mov_b64_e32 v[112:113], v[4:5]
.LBB0_2:                                ; =>This Inner Loop Header: Depth=1
	s_load_dwordx2 s[28:29], s[24:25], 0x0
                                        ; implicit-def: $vgpr116_vgpr117
	s_waitcnt lgkmcnt(0)
	v_or_b32_e32 v3, s29, v7
	v_cmp_ne_u64_e32 vcc, 0, v[2:3]
	s_and_saveexec_b64 s[2:3], vcc
	s_xor_b64 s[30:31], exec, s[2:3]
	s_cbranch_execz .LBB0_4
; %bb.3:                                ;   in Loop: Header=BB0_2 Depth=1
	v_cvt_f32_u32_e32 v1, s28
	v_cvt_f32_u32_e32 v3, s29
	s_sub_u32 s2, 0, s28
	s_subb_u32 s3, 0, s29
	v_fmac_f32_e32 v1, 0x4f800000, v3
	v_rcp_f32_e32 v1, v1
	s_nop 0
	v_mul_f32_e32 v1, 0x5f7ffffc, v1
	v_mul_f32_e32 v3, 0x2f800000, v1
	v_trunc_f32_e32 v3, v3
	v_fmac_f32_e32 v1, 0xcf800000, v3
	v_cvt_u32_f32_e32 v3, v3
	v_cvt_u32_f32_e32 v1, v1
	v_mul_lo_u32 v8, s2, v3
	v_mul_hi_u32 v10, s2, v1
	v_mul_lo_u32 v9, s3, v1
	v_add_u32_e32 v10, v10, v8
	v_mul_lo_u32 v12, s2, v1
	v_add_u32_e32 v13, v10, v9
	v_mul_hi_u32 v8, v1, v12
	v_mul_hi_u32 v11, v1, v13
	v_mul_lo_u32 v10, v1, v13
	v_mov_b32_e32 v9, v2
	v_lshl_add_u64 v[8:9], v[8:9], 0, v[10:11]
	v_mul_hi_u32 v11, v3, v12
	v_mul_lo_u32 v12, v3, v12
	v_add_co_u32_e32 v8, vcc, v8, v12
	v_mul_hi_u32 v10, v3, v13
	s_nop 0
	v_addc_co_u32_e32 v8, vcc, v9, v11, vcc
	v_mov_b32_e32 v9, v2
	s_nop 0
	v_addc_co_u32_e32 v11, vcc, 0, v10, vcc
	v_mul_lo_u32 v10, v3, v13
	v_lshl_add_u64 v[8:9], v[8:9], 0, v[10:11]
	v_add_co_u32_e32 v1, vcc, v1, v8
	v_mul_lo_u32 v10, s2, v1
	s_nop 0
	v_addc_co_u32_e32 v3, vcc, v3, v9, vcc
	v_mul_lo_u32 v8, s2, v3
	v_mul_hi_u32 v9, s2, v1
	v_add_u32_e32 v8, v9, v8
	v_mul_lo_u32 v9, s3, v1
	v_add_u32_e32 v12, v8, v9
	v_mul_hi_u32 v14, v3, v10
	v_mul_lo_u32 v15, v3, v10
	v_mul_hi_u32 v9, v1, v12
	v_mul_lo_u32 v8, v1, v12
	v_mul_hi_u32 v10, v1, v10
	v_mov_b32_e32 v11, v2
	v_lshl_add_u64 v[8:9], v[10:11], 0, v[8:9]
	v_add_co_u32_e32 v8, vcc, v8, v15
	v_mul_hi_u32 v13, v3, v12
	s_nop 0
	v_addc_co_u32_e32 v8, vcc, v9, v14, vcc
	v_mul_lo_u32 v10, v3, v12
	s_nop 0
	v_addc_co_u32_e32 v11, vcc, 0, v13, vcc
	v_mov_b32_e32 v9, v2
	v_lshl_add_u64 v[8:9], v[8:9], 0, v[10:11]
	v_add_co_u32_e32 v1, vcc, v1, v8
	v_mul_hi_u32 v10, v6, v1
	s_nop 0
	v_addc_co_u32_e32 v3, vcc, v3, v9, vcc
	v_mad_u64_u32 v[8:9], s[2:3], v6, v3, 0
	v_mov_b32_e32 v11, v2
	v_lshl_add_u64 v[8:9], v[10:11], 0, v[8:9]
	v_mad_u64_u32 v[12:13], s[2:3], v7, v1, 0
	v_add_co_u32_e32 v1, vcc, v8, v12
	v_mad_u64_u32 v[10:11], s[2:3], v7, v3, 0
	s_nop 0
	v_addc_co_u32_e32 v8, vcc, v9, v13, vcc
	v_mov_b32_e32 v9, v2
	s_nop 0
	v_addc_co_u32_e32 v11, vcc, 0, v11, vcc
	v_lshl_add_u64 v[8:9], v[8:9], 0, v[10:11]
	v_mul_lo_u32 v1, s29, v8
	v_mul_lo_u32 v3, s28, v9
	v_mad_u64_u32 v[10:11], s[2:3], s28, v8, 0
	v_add3_u32 v1, v11, v3, v1
	v_sub_u32_e32 v3, v7, v1
	v_mov_b32_e32 v11, s29
	v_sub_co_u32_e32 v14, vcc, v6, v10
	v_lshl_add_u64 v[12:13], v[8:9], 0, 1
	s_nop 0
	v_subb_co_u32_e64 v3, s[2:3], v3, v11, vcc
	v_subrev_co_u32_e64 v10, s[2:3], s28, v14
	v_subb_co_u32_e32 v1, vcc, v7, v1, vcc
	s_nop 0
	v_subbrev_co_u32_e64 v3, s[2:3], 0, v3, s[2:3]
	v_cmp_le_u32_e64 s[2:3], s29, v3
	v_cmp_le_u32_e32 vcc, s29, v1
	s_nop 0
	v_cndmask_b32_e64 v11, 0, -1, s[2:3]
	v_cmp_le_u32_e64 s[2:3], s28, v10
	s_nop 1
	v_cndmask_b32_e64 v10, 0, -1, s[2:3]
	v_cmp_eq_u32_e64 s[2:3], s29, v3
	s_nop 1
	v_cndmask_b32_e64 v3, v11, v10, s[2:3]
	v_lshl_add_u64 v[10:11], v[8:9], 0, 2
	v_cmp_ne_u32_e64 s[2:3], 0, v3
	s_nop 1
	v_cndmask_b32_e64 v3, v13, v11, s[2:3]
	v_cndmask_b32_e64 v11, 0, -1, vcc
	v_cmp_le_u32_e32 vcc, s28, v14
	s_nop 1
	v_cndmask_b32_e64 v13, 0, -1, vcc
	v_cmp_eq_u32_e32 vcc, s29, v1
	s_nop 1
	v_cndmask_b32_e32 v1, v11, v13, vcc
	v_cmp_ne_u32_e32 vcc, 0, v1
	v_cndmask_b32_e64 v1, v12, v10, s[2:3]
	s_nop 0
	v_cndmask_b32_e32 v117, v9, v3, vcc
	v_cndmask_b32_e32 v116, v8, v1, vcc
.LBB0_4:                                ;   in Loop: Header=BB0_2 Depth=1
	s_andn2_saveexec_b64 s[2:3], s[30:31]
	s_cbranch_execz .LBB0_6
; %bb.5:                                ;   in Loop: Header=BB0_2 Depth=1
	v_cvt_f32_u32_e32 v1, s28
	s_sub_i32 s30, 0, s28
	v_mov_b32_e32 v117, v2
	v_rcp_iflag_f32_e32 v1, v1
	s_nop 0
	v_mul_f32_e32 v1, 0x4f7ffffe, v1
	v_cvt_u32_f32_e32 v1, v1
	v_mul_lo_u32 v3, s30, v1
	v_mul_hi_u32 v3, v1, v3
	v_add_u32_e32 v1, v1, v3
	v_mul_hi_u32 v1, v6, v1
	v_mul_lo_u32 v3, v1, s28
	v_sub_u32_e32 v3, v6, v3
	v_add_u32_e32 v8, 1, v1
	v_subrev_u32_e32 v9, s28, v3
	v_cmp_le_u32_e32 vcc, s28, v3
	s_nop 1
	v_cndmask_b32_e32 v3, v3, v9, vcc
	v_cndmask_b32_e32 v1, v1, v8, vcc
	v_add_u32_e32 v8, 1, v1
	v_cmp_le_u32_e32 vcc, s28, v3
	s_nop 1
	v_cndmask_b32_e32 v116, v1, v8, vcc
.LBB0_6:                                ;   in Loop: Header=BB0_2 Depth=1
	s_or_b64 exec, exec, s[2:3]
	v_mad_u64_u32 v[8:9], s[2:3], v116, s28, 0
	s_load_dwordx2 s[2:3], s[22:23], 0x0
	v_mul_lo_u32 v1, v117, s28
	v_mul_lo_u32 v3, v116, s29
	s_load_dwordx2 s[28:29], s[20:21], 0x0
	s_add_u32 s26, s26, 1
	v_add3_u32 v1, v9, v3, v1
	v_sub_co_u32_e32 v3, vcc, v6, v8
	s_addc_u32 s27, s27, 0
	s_nop 0
	v_subb_co_u32_e32 v1, vcc, v7, v1, vcc
	s_add_u32 s20, s20, 8
	s_waitcnt lgkmcnt(0)
	v_mul_lo_u32 v6, s2, v1
	v_mul_lo_u32 v7, s3, v3
	v_mad_u64_u32 v[4:5], s[2:3], s2, v3, v[4:5]
	s_addc_u32 s21, s21, 0
	v_add3_u32 v5, v7, v5, v6
	v_mul_lo_u32 v1, s28, v1
	v_mul_lo_u32 v6, s29, v3
	v_mad_u64_u32 v[112:113], s[2:3], s28, v3, v[112:113]
	s_add_u32 s22, s22, 8
	v_add3_u32 v113, v6, v113, v1
	s_addc_u32 s23, s23, 0
	v_mov_b64_e32 v[6:7], s[10:11]
	s_add_u32 s24, s24, 8
	v_cmp_ge_u64_e32 vcc, s[26:27], v[6:7]
	s_addc_u32 s25, s25, 0
	s_cbranch_vccnz .LBB0_9
; %bb.7:                                ;   in Loop: Header=BB0_2 Depth=1
	v_mov_b64_e32 v[6:7], v[116:117]
	s_branch .LBB0_2
.LBB0_8:
	v_mov_b64_e32 v[112:113], v[4:5]
	v_mov_b64_e32 v[116:117], v[6:7]
.LBB0_9:
	s_load_dwordx2 s[0:1], s[0:1], 0x28
	s_lshl_b64 s[20:21], s[10:11], 3
	s_add_u32 s10, s14, s20
	s_addc_u32 s11, s15, s21
                                        ; implicit-def: $vgpr114
	s_waitcnt lgkmcnt(0)
	v_cmp_gt_u64_e32 vcc, s[0:1], v[116:117]
	v_cmp_le_u64_e64 s[0:1], s[0:1], v[116:117]
	s_and_saveexec_b64 s[2:3], s[0:1]
	s_xor_b64 s[0:1], exec, s[2:3]
; %bb.10:
	s_mov_b32 s2, 0x2222223
	v_mul_hi_u32 v1, v0, s2
	v_mul_u32_u24_e32 v1, 0x78, v1
	v_sub_u32_e32 v114, v0, v1
                                        ; implicit-def: $vgpr0
                                        ; implicit-def: $vgpr4_vgpr5
; %bb.11:
	s_or_saveexec_b64 s[2:3], s[0:1]
	s_load_dwordx2 s[10:11], s[10:11], 0x0
                                        ; implicit-def: $vgpr6_vgpr7
                                        ; implicit-def: $vgpr18_vgpr19
                                        ; implicit-def: $vgpr14_vgpr15
                                        ; implicit-def: $vgpr26_vgpr27
                                        ; implicit-def: $vgpr22_vgpr23
                                        ; implicit-def: $vgpr34_vgpr35
                                        ; implicit-def: $vgpr50_vgpr51
                                        ; implicit-def: $vgpr10_vgpr11
                                        ; implicit-def: $vgpr30_vgpr31
                                        ; implicit-def: $vgpr54_vgpr55
                                        ; implicit-def: $vgpr42_vgpr43
                                        ; implicit-def: $vgpr62_vgpr63
                                        ; implicit-def: $vgpr74_vgpr75
                                        ; implicit-def: $vgpr78_vgpr79
                                        ; implicit-def: $vgpr66_vgpr67
                                        ; implicit-def: $vgpr70_vgpr71
                                        ; implicit-def: $vgpr58_vgpr59
                                        ; implicit-def: $vgpr46_vgpr47
                                        ; implicit-def: $vgpr38_vgpr39
                                        ; implicit-def: $vgpr2_vgpr3
	s_xor_b64 exec, exec, s[2:3]
	s_cbranch_execz .LBB0_15
; %bb.12:
	s_add_u32 s0, s12, s20
	s_addc_u32 s1, s13, s21
	s_load_dwordx2 s[0:1], s[0:1], 0x0
	s_mov_b32 s12, 0x2222223
                                        ; implicit-def: $vgpr56_vgpr57
                                        ; implicit-def: $vgpr68_vgpr69
                                        ; implicit-def: $vgpr64_vgpr65
                                        ; implicit-def: $vgpr76_vgpr77
                                        ; implicit-def: $vgpr72_vgpr73
                                        ; implicit-def: $vgpr60_vgpr61
                                        ; implicit-def: $vgpr40_vgpr41
                                        ; implicit-def: $vgpr52_vgpr53
	s_waitcnt lgkmcnt(0)
	v_mul_lo_u32 v1, s1, v116
	v_mul_lo_u32 v6, s0, v117
	v_mad_u64_u32 v[2:3], s[0:1], s0, v116, 0
	v_add3_u32 v3, v3, v6, v1
	v_mul_hi_u32 v1, v0, s12
	v_mul_u32_u24_e32 v1, 0x78, v1
	v_sub_u32_e32 v114, v0, v1
	v_mad_u64_u32 v[0:1], s[0:1], s18, v114, 0
	v_mov_b32_e32 v6, v1
	v_mad_u64_u32 v[6:7], s[0:1], s19, v114, v[6:7]
	v_lshl_add_u64 v[2:3], v[2:3], 4, s[4:5]
	v_mov_b32_e32 v1, v6
	v_lshl_add_u64 v[74:75], v[4:5], 4, v[2:3]
	v_add_u32_e32 v3, 0xc0, v114
	v_lshl_add_u64 v[8:9], v[0:1], 4, v[74:75]
	v_mad_u64_u32 v[0:1], s[0:1], s18, v3, 0
	v_mov_b32_e32 v2, v1
	v_mad_u64_u32 v[2:3], s[0:1], s19, v3, v[2:3]
	v_mov_b32_e32 v1, v2
	v_lshl_add_u64 v[10:11], v[0:1], 4, v[74:75]
	global_load_dwordx4 v[0:3], v[8:9], off
	global_load_dwordx4 v[4:7], v[10:11], off
	v_or_b32_e32 v11, 0x180, v114
	v_mad_u64_u32 v[8:9], s[0:1], s18, v11, 0
	v_mov_b32_e32 v10, v9
	v_mad_u64_u32 v[10:11], s[0:1], s19, v11, v[10:11]
	v_add_u32_e32 v13, 0x240, v114
	v_mov_b32_e32 v9, v10
	v_mad_u64_u32 v[10:11], s[0:1], s18, v13, 0
	v_mov_b32_e32 v12, v11
	v_mad_u64_u32 v[12:13], s[0:1], s19, v13, v[12:13]
	v_mov_b32_e32 v11, v12
	v_lshl_add_u64 v[8:9], v[8:9], 4, v[74:75]
	v_lshl_add_u64 v[10:11], v[10:11], 4, v[74:75]
	global_load_dwordx4 v[16:19], v[8:9], off
	global_load_dwordx4 v[12:15], v[10:11], off
	v_or_b32_e32 v11, 0x300, v114
	v_mad_u64_u32 v[8:9], s[0:1], s18, v11, 0
	v_mov_b32_e32 v10, v9
	v_mad_u64_u32 v[10:11], s[0:1], s19, v11, v[10:11]
	v_add_u32_e32 v21, 0x3c0, v114
	v_mov_b32_e32 v9, v10
	v_mad_u64_u32 v[10:11], s[0:1], s18, v21, 0
	v_mov_b32_e32 v20, v11
	v_mad_u64_u32 v[20:21], s[0:1], s19, v21, v[20:21]
	v_mov_b32_e32 v11, v20
	v_lshl_add_u64 v[8:9], v[8:9], 4, v[74:75]
	;; [unrolled: 14-line block ×3, first 2 shown]
	v_lshl_add_u64 v[10:11], v[10:11], 4, v[74:75]
	global_load_dwordx4 v[36:39], v[8:9], off
	global_load_dwordx4 v[32:35], v[10:11], off
	v_or_b32_e32 v11, 0x600, v114
	v_mad_u64_u32 v[8:9], s[0:1], s18, v11, 0
	v_mov_b32_e32 v10, v9
	v_mad_u64_u32 v[10:11], s[0:1], s19, v11, v[10:11]
	v_add_u32_e32 v29, 0x6c0, v114
	v_mov_b32_e32 v9, v10
	v_mad_u64_u32 v[10:11], s[0:1], s18, v29, 0
	v_mov_b32_e32 v28, v11
	v_mad_u64_u32 v[28:29], s[0:1], s19, v29, v[28:29]
	v_lshl_add_u64 v[8:9], v[8:9], 4, v[74:75]
	v_mov_b32_e32 v11, v28
	v_lshl_add_u64 v[10:11], v[10:11], 4, v[74:75]
	global_load_dwordx4 v[48:51], v[8:9], off
	global_load_dwordx4 v[44:47], v[10:11], off
	s_movk_i32 s0, 0x48
	v_cmp_gt_u32_e64 s[0:1], s0, v114
                                        ; implicit-def: $vgpr28_vgpr29
                                        ; implicit-def: $vgpr8_vgpr9
	s_and_saveexec_b64 s[4:5], s[0:1]
	s_cbranch_execz .LBB0_14
; %bb.13:
	v_add_u32_e32 v11, 0x78, v114
	v_mad_u64_u32 v[8:9], s[0:1], s18, v11, 0
	v_mov_b32_e32 v10, v9
	v_mad_u64_u32 v[10:11], s[0:1], s19, v11, v[10:11]
	v_mov_b32_e32 v9, v10
	v_add_u32_e32 v11, 0x138, v114
	v_lshl_add_u64 v[40:41], v[8:9], 4, v[74:75]
	v_mad_u64_u32 v[8:9], s[0:1], s18, v11, 0
	v_mov_b32_e32 v10, v9
	v_mad_u64_u32 v[10:11], s[0:1], s19, v11, v[10:11]
	v_mov_b32_e32 v9, v10
	v_lshl_add_u64 v[42:43], v[8:9], 4, v[74:75]
	global_load_dwordx4 v[8:11], v[40:41], off
	global_load_dwordx4 v[28:31], v[42:43], off
	v_add_u32_e32 v43, 0x1f8, v114
	v_mad_u64_u32 v[40:41], s[0:1], s18, v43, 0
	v_mov_b32_e32 v42, v41
	v_mad_u64_u32 v[42:43], s[0:1], s19, v43, v[42:43]
	v_mov_b32_e32 v41, v42
	v_add_u32_e32 v43, 0x2b8, v114
	v_lshl_add_u64 v[56:57], v[40:41], 4, v[74:75]
	v_mad_u64_u32 v[40:41], s[0:1], s18, v43, 0
	v_mov_b32_e32 v42, v41
	v_mad_u64_u32 v[42:43], s[0:1], s19, v43, v[42:43]
	v_mov_b32_e32 v41, v42
	v_lshl_add_u64 v[58:59], v[40:41], 4, v[74:75]
	global_load_dwordx4 v[52:55], v[56:57], off
	global_load_dwordx4 v[40:43], v[58:59], off
	;; [unrolled: 14-line block ×5, first 2 shown]
.LBB0_14:
	s_or_b64 exec, exec, s[4:5]
.LBB0_15:
	s_or_b64 exec, exec, s[2:3]
	v_and_b32_e32 v80, 1, v80
	v_mov_b32_e32 v81, 0x780
	v_cmp_eq_u32_e64 s[0:1], 1, v80
	s_waitcnt vmcnt(1)
	v_add_f64 v[82:83], v[48:49], -v[36:37]
	s_waitcnt vmcnt(0)
	v_add_f64 v[84:85], v[44:45], -v[32:33]
	v_cndmask_b32_e64 v106, 0, v81, s[0:1]
	v_add_f64 v[80:81], v[16:17], -v[24:25]
	v_add_f64 v[80:81], v[80:81], v[82:83]
	v_add_f64 v[82:83], v[12:13], -v[20:21]
	v_add_f64 v[82:83], v[82:83], v[84:85]
	v_add_f64 v[84:85], v[14:15], -v[22:23]
	v_add_f64 v[86:87], v[46:47], -v[34:35]
	v_add_f64 v[86:87], v[84:85], v[86:87]
	v_add_f64 v[84:85], v[16:17], v[0:1]
	;; [unrolled: 1-line block ×3, first 2 shown]
	s_mov_b32 s2, 0x134454ff
	v_add_f64 v[102:103], v[22:23], v[34:35]
	v_add_f64 v[84:85], v[36:37], v[84:85]
	s_mov_b32 s3, 0x3fee6f0e
	s_mov_b32 s0, 0x4755a5e
	;; [unrolled: 1-line block ×4, first 2 shown]
	v_add_f64 v[98:99], v[20:21], v[32:33]
	v_fma_f64 v[120:121], -0.5, v[102:103], v[6:7]
	v_add_f64 v[102:103], v[12:13], -v[44:45]
	v_add_f64 v[88:89], v[48:49], v[84:85]
	v_add_f64 v[84:85], v[24:25], v[36:37]
	s_mov_b32 s1, 0x3fe2cf23
	s_mov_b32 s4, 0x372fe950
	;; [unrolled: 1-line block ×4, first 2 shown]
	v_fma_f64 v[118:119], -0.5, v[98:99], v[4:5]
	v_add_f64 v[98:99], v[14:15], -v[46:47]
	v_fma_f64 v[124:125], s[12:13], v[102:103], v[120:121]
	v_add_f64 v[104:105], v[20:21], -v[32:33]
	v_fma_f64 v[84:85], -0.5, v[84:85], v[0:1]
	v_add_f64 v[90:91], v[18:19], -v[50:51]
	s_mov_b32 s5, 0x3fd3c6ef
	v_add_f64 v[94:95], v[4:5], v[12:13]
	v_fma_f64 v[122:123], s[2:3], v[98:99], v[118:119]
	v_add_f64 v[100:101], v[22:23], -v[34:35]
	v_fmac_f64_e32 v[124:125], s[14:15], v[104:105]
	v_fma_f64 v[96:97], s[2:3], v[90:91], v[84:85]
	v_add_f64 v[92:93], v[26:27], -v[38:39]
	v_add_f64 v[94:95], v[94:95], v[20:21]
	v_fmac_f64_e32 v[122:123], s[0:1], v[100:101]
	v_fmac_f64_e32 v[124:125], s[4:5], v[86:87]
	s_mov_b32 s18, 0x9b97f4a8
	v_fmac_f64_e32 v[96:97], s[0:1], v[92:93]
	v_add_f64 v[94:95], v[94:95], v[32:33]
	v_fmac_f64_e32 v[122:123], s[4:5], v[82:83]
	s_mov_b32 s19, 0x3fe9e377
	v_mul_f64 v[128:129], v[124:125], s[0:1]
	v_mul_u32_u24_e32 v107, 10, v114
	v_fmac_f64_e32 v[96:97], s[4:5], v[80:81]
	v_add_f64 v[94:95], v[94:95], v[44:45]
	v_fmac_f64_e32 v[128:129], s[18:19], v[122:123]
	v_lshl_add_u32 v107, v107, 3, 0
	v_add_f64 v[108:109], v[94:95], v[88:89]
	v_add_f64 v[110:111], v[128:129], v[96:97]
	v_lshl_add_u32 v141, v106, 3, v107
	ds_write_b128 v141, v[108:111]
	v_add_f64 v[108:109], v[16:17], v[48:49]
	v_fmac_f64_e32 v[0:1], -0.5, v[108:109]
	v_add_f64 v[108:109], v[24:25], -v[16:17]
	v_add_f64 v[110:111], v[36:37], -v[48:49]
	v_fma_f64 v[130:131], s[12:13], v[92:93], v[0:1]
	v_fmac_f64_e32 v[0:1], s[2:3], v[92:93]
	v_add_f64 v[108:109], v[108:109], v[110:111]
	v_fmac_f64_e32 v[130:131], s[0:1], v[90:91]
	v_fmac_f64_e32 v[0:1], s[14:15], v[90:91]
	;; [unrolled: 1-line block ×4, first 2 shown]
	v_add_f64 v[108:109], v[12:13], v[44:45]
	v_fmac_f64_e32 v[4:5], -0.5, v[108:109]
	v_add_f64 v[12:13], v[20:21], -v[12:13]
	v_add_f64 v[20:21], v[32:33], -v[44:45]
	v_add_f64 v[20:21], v[12:13], v[20:21]
	v_fma_f64 v[12:13], s[12:13], v[100:101], v[4:5]
	v_fmac_f64_e32 v[4:5], s[2:3], v[100:101]
	v_fmac_f64_e32 v[12:13], s[0:1], v[98:99]
	;; [unrolled: 1-line block ×5, first 2 shown]
	v_add_f64 v[20:21], v[22:23], -v[14:15]
	v_add_f64 v[32:33], v[34:35], -v[46:47]
	v_add_f64 v[32:33], v[20:21], v[32:33]
	v_add_f64 v[20:21], v[14:15], v[46:47]
	v_fma_f64 v[20:21], -0.5, v[20:21], v[6:7]
	v_fma_f64 v[126:127], s[2:3], v[104:105], v[20:21]
	v_fmac_f64_e32 v[20:21], s[12:13], v[104:105]
	v_fmac_f64_e32 v[126:127], s[14:15], v[102:103]
	;; [unrolled: 1-line block ×6, first 2 shown]
	v_mul_f64 v[32:33], v[12:13], s[4:5]
	v_fmac_f64_e32 v[118:119], s[14:15], v[100:101]
	v_fmac_f64_e32 v[120:121], s[2:3], v[102:103]
	;; [unrolled: 1-line block ×6, first 2 shown]
	v_add_f64 v[108:109], v[96:97], -v[128:129]
	v_add_f64 v[110:111], v[130:131], -v[32:33]
	v_add_f64 v[128:129], v[130:131], v[32:33]
	v_mul_f64 v[32:33], v[4:5], s[4:5]
	v_fmac_f64_e32 v[84:85], s[14:15], v[92:93]
	v_fmac_f64_e32 v[120:121], s[4:5], v[86:87]
	v_mul_f64 v[44:45], v[118:119], s[18:19]
	v_fma_f64 v[32:33], v[20:21], s[2:3], -v[32:33]
	v_fmac_f64_e32 v[84:85], s[4:5], v[80:81]
	v_fma_f64 v[44:45], v[120:121], s[0:1], -v[44:45]
	v_add_f64 v[130:131], v[0:1], v[32:33]
	v_add_f64 v[82:83], v[88:89], -v[94:95]
	v_add_f64 v[80:81], v[44:45], v[84:85]
	ds_write_b128 v141, v[128:131] offset:16
	ds_write_b128 v141, v[80:83] offset:32
	;; [unrolled: 1-line block ×3, first 2 shown]
	v_add_f64 v[80:81], v[0:1], -v[32:33]
	v_add_f64 v[0:1], v[52:53], -v[60:61]
	;; [unrolled: 1-line block ×3, first 2 shown]
	v_add_f64 v[0:1], v[0:1], v[32:33]
	v_add_f64 v[32:33], v[60:61], v[68:69]
	v_add_f64 v[82:83], v[84:85], -v[44:45]
	v_fma_f64 v[84:85], -0.5, v[32:33], v[8:9]
	v_add_f64 v[44:45], v[54:55], -v[78:79]
	ds_write_b128 v141, v[80:83] offset:64
	v_fma_f64 v[32:33], s[2:3], v[44:45], v[84:85]
	v_add_f64 v[80:81], v[62:63], -v[70:71]
	v_fmac_f64_e32 v[84:85], s[12:13], v[44:45]
	v_fmac_f64_e32 v[32:33], s[0:1], v[80:81]
	;; [unrolled: 1-line block ×5, first 2 shown]
	v_add_f64 v[0:1], v[52:53], v[76:77]
	v_add_f64 v[82:83], v[8:9], v[52:53]
	v_fmac_f64_e32 v[8:9], -0.5, v[0:1]
	v_add_f64 v[0:1], v[60:61], -v[52:53]
	v_add_f64 v[86:87], v[68:69], -v[76:77]
	v_fma_f64 v[88:89], s[12:13], v[80:81], v[8:9]
	v_fmac_f64_e32 v[8:9], s[2:3], v[80:81]
	v_add_f64 v[0:1], v[0:1], v[86:87]
	v_fmac_f64_e32 v[88:89], s[0:1], v[44:45]
	v_fmac_f64_e32 v[8:9], s[14:15], v[44:45]
	v_fmac_f64_e32 v[88:89], s[4:5], v[0:1]
	v_fmac_f64_e32 v[8:9], s[4:5], v[0:1]
	v_add_f64 v[0:1], v[40:41], -v[56:57]
	v_add_f64 v[44:45], v[72:73], -v[64:65]
	v_add_f64 v[80:81], v[44:45], v[0:1]
	v_add_f64 v[0:1], v[64:65], v[56:57]
	v_fma_f64 v[44:45], -0.5, v[0:1], v[28:29]
	v_add_f64 v[86:87], v[42:43], -v[74:75]
	v_fma_f64 v[0:1], s[2:3], v[86:87], v[44:45]
	v_add_f64 v[90:91], v[58:59], -v[66:67]
	v_fmac_f64_e32 v[44:45], s[12:13], v[86:87]
	v_fmac_f64_e32 v[0:1], s[0:1], v[90:91]
	;; [unrolled: 1-line block ×3, first 2 shown]
	v_add_f64 v[92:93], v[40:41], v[72:73]
	v_fmac_f64_e32 v[0:1], s[4:5], v[80:81]
	v_fmac_f64_e32 v[44:45], s[4:5], v[80:81]
	v_add_f64 v[80:81], v[28:29], v[40:41]
	v_fmac_f64_e32 v[28:29], -0.5, v[92:93]
	v_fma_f64 v[128:129], s[12:13], v[90:91], v[28:29]
	v_fmac_f64_e32 v[28:29], s[2:3], v[90:91]
	v_fmac_f64_e32 v[128:129], s[0:1], v[86:87]
	;; [unrolled: 1-line block ×3, first 2 shown]
	v_add_f64 v[86:87], v[42:43], -v[58:59]
	v_add_f64 v[90:91], v[74:75], -v[66:67]
	v_add_f64 v[86:87], v[90:91], v[86:87]
	v_add_f64 v[90:91], v[66:67], v[58:59]
	v_add_f64 v[92:93], v[56:57], -v[40:41]
	v_fma_f64 v[130:131], -0.5, v[90:91], v[30:31]
	v_add_f64 v[40:41], v[40:41], -v[72:73]
	v_add_f64 v[94:95], v[64:65], -v[72:73]
	v_fma_f64 v[132:133], s[12:13], v[40:41], v[130:131]
	v_add_f64 v[90:91], v[56:57], -v[64:65]
	v_fmac_f64_e32 v[130:131], s[2:3], v[40:41]
	v_add_f64 v[92:93], v[94:95], v[92:93]
	v_fmac_f64_e32 v[132:133], s[14:15], v[90:91]
	v_fmac_f64_e32 v[130:131], s[0:1], v[90:91]
	;; [unrolled: 1-line block ×6, first 2 shown]
	v_add_f64 v[86:87], v[58:59], -v[42:43]
	v_add_f64 v[92:93], v[66:67], -v[74:75]
	v_add_f64 v[86:87], v[92:93], v[86:87]
	v_add_f64 v[92:93], v[42:43], v[74:75]
	v_fma_f64 v[134:135], -0.5, v[92:93], v[30:31]
	v_fma_f64 v[136:137], s[2:3], v[90:91], v[134:135]
	v_fmac_f64_e32 v[134:135], s[12:13], v[90:91]
	v_fmac_f64_e32 v[136:137], s[14:15], v[40:41]
	v_add_f64 v[56:57], v[80:81], v[56:57]
	v_fmac_f64_e32 v[134:135], s[0:1], v[40:41]
	v_fmac_f64_e32 v[136:137], s[4:5], v[86:87]
	v_add_f64 v[40:41], v[82:83], v[60:61]
	v_add_f64 v[56:57], v[64:65], v[56:57]
	v_fmac_f64_e32 v[134:135], s[4:5], v[86:87]
	v_add_f64 v[40:41], v[40:41], v[68:69]
	v_add_f64 v[56:57], v[72:73], v[56:57]
	v_mul_f64 v[64:65], v[0:1], s[18:19]
	v_mul_f64 v[90:91], v[136:137], s[2:3]
	;; [unrolled: 1-line block ×4, first 2 shown]
	v_add_f64 v[40:41], v[76:77], v[40:41]
	v_fmac_f64_e32 v[64:65], s[0:1], v[132:133]
	v_fmac_f64_e32 v[90:91], s[4:5], v[128:129]
	v_fma_f64 v[72:73], v[134:135], s[2:3], -v[72:73]
	v_fma_f64 v[86:87], v[130:131], s[0:1], -v[86:87]
	s_movk_i32 s0, 0x48
	v_add_f64 v[80:81], v[88:89], v[90:91]
	v_add_f64 v[82:83], v[8:9], v[72:73]
	;; [unrolled: 1-line block ×3, first 2 shown]
	v_add_f64 v[94:95], v[40:41], -v[56:57]
	v_add_f64 v[90:91], v[88:89], -v[90:91]
	v_add_f64 v[88:89], v[32:33], -v[64:65]
	v_cmp_gt_u32_e64 s[2:3], s0, v114
	s_and_saveexec_b64 s[0:1], s[2:3]
	s_cbranch_execz .LBB0_17
; %bb.16:
	v_add_f64 v[98:99], v[32:33], v[64:65]
	v_add_f64 v[96:97], v[40:41], v[56:57]
	v_add_f64 v[86:87], v[84:85], -v[86:87]
	v_add_f64 v[84:85], v[8:9], -v[72:73]
	ds_write_b128 v141, v[96:99] offset:9600
	ds_write_b128 v141, v[80:83] offset:9616
	;; [unrolled: 1-line block ×5, first 2 shown]
.LBB0_17:
	s_or_b64 exec, exec, s[0:1]
	v_lshlrev_b32_e32 v115, 3, v106
	v_mul_i32_i24_e32 v8, 0xffffffb8, v114
	v_add3_u32 v139, v107, v8, v115
	v_add_u32_e32 v8, 0x300, v139
	s_waitcnt lgkmcnt(0)
	s_barrier
	ds_read2_b64 v[84:87], v8 offset0:24 offset1:224
	v_add_u32_e32 v8, 0xd00, v139
	ds_read2_b64 v[108:111], v8 offset0:24 offset1:224
	v_add_u32_e32 v8, 0x1700, v139
	;; [unrolled: 2-line block ×3, first 2 shown]
	v_lshlrev_b32_e32 v140, 3, v114
	ds_read2_b64 v[100:103], v8 offset0:24 offset1:224
	v_add_u32_e32 v8, 0x2b00, v139
	v_add3_u32 v138, 0, v115, v140
	ds_read2_b64 v[104:107], v8 offset0:24 offset1:224
	ds_read_b64 v[32:33], v138
	ds_read_b64 v[40:41], v139 offset:13760
	s_movk_i32 s0, 0x50
	v_cmp_gt_u32_e64 s[0:1], s0, v114
	s_and_saveexec_b64 s[4:5], s[0:1]
	s_cbranch_execz .LBB0_19
; %bb.18:
	v_add_u32_e32 v8, 0x180, v139
	ds_read2st64_b64 v[80:83], v8 offset0:3 offset1:8
	ds_read2st64_b64 v[92:95], v8 offset0:13 offset1:18
	;; [unrolled: 1-line block ×3, first 2 shown]
.LBB0_19:
	s_or_b64 exec, exec, s[4:5]
	v_add_f64 v[56:57], v[26:27], v[38:39]
	s_mov_b32 s4, 0x134454ff
	v_fma_f64 v[56:57], -0.5, v[56:57], v[2:3]
	v_add_f64 v[16:17], v[16:17], -v[48:49]
	s_mov_b32 s5, 0xbfee6f0e
	s_mov_b32 s12, 0x4755a5e
	;; [unrolled: 1-line block ×4, first 2 shown]
	v_fma_f64 v[64:65], s[4:5], v[16:17], v[56:57]
	v_add_f64 v[24:25], v[24:25], -v[36:37]
	s_mov_b32 s13, 0xbfe2cf23
	v_add_f64 v[36:37], v[18:19], -v[26:27]
	v_add_f64 v[48:49], v[50:51], -v[38:39]
	s_mov_b32 s14, 0x372fe950
	v_fmac_f64_e32 v[56:57], s[20:21], v[16:17]
	s_mov_b32 s19, 0x3fe2cf23
	s_mov_b32 s18, s12
	v_fmac_f64_e32 v[64:65], s[12:13], v[24:25]
	v_add_f64 v[36:37], v[36:37], v[48:49]
	s_mov_b32 s15, 0x3fd3c6ef
	v_fmac_f64_e32 v[56:57], s[18:19], v[24:25]
	v_fmac_f64_e32 v[64:65], s[14:15], v[36:37]
	;; [unrolled: 1-line block ×3, first 2 shown]
	v_add_f64 v[36:37], v[18:19], v[50:51]
	v_add_f64 v[8:9], v[18:19], v[2:3]
	v_fmac_f64_e32 v[2:3], -0.5, v[36:37]
	v_add_f64 v[8:9], v[26:27], v[8:9]
	v_fma_f64 v[72:73], s[20:21], v[24:25], v[2:3]
	v_add_f64 v[18:19], v[26:27], -v[18:19]
	v_add_f64 v[26:27], v[38:39], -v[50:51]
	v_fmac_f64_e32 v[2:3], s[4:5], v[24:25]
	v_fmac_f64_e32 v[72:73], s[12:13], v[16:17]
	v_add_f64 v[18:19], v[18:19], v[26:27]
	v_fmac_f64_e32 v[2:3], s[18:19], v[16:17]
	v_mul_f64 v[16:17], v[20:21], s[14:15]
	v_fmac_f64_e32 v[2:3], s[14:15], v[18:19]
	v_add_f64 v[6:7], v[6:7], v[14:15]
	v_fma_f64 v[4:5], v[4:5], s[4:5], -v[16:17]
	v_add_f64 v[6:7], v[6:7], v[22:23]
	v_add_f64 v[48:49], v[2:3], v[4:5]
	v_add_f64 v[142:143], v[2:3], -v[4:5]
	v_add_f64 v[2:3], v[10:11], v[54:55]
	v_add_f64 v[8:9], v[38:39], v[8:9]
	;; [unrolled: 1-line block ×3, first 2 shown]
	s_mov_b32 s22, 0x9b97f4a8
	v_add_f64 v[2:3], v[2:3], v[62:63]
	v_add_f64 v[8:9], v[50:51], v[8:9]
	;; [unrolled: 1-line block ×3, first 2 shown]
	s_mov_b32 s23, 0x3fe9e377
	v_add_f64 v[2:3], v[2:3], v[70:71]
	v_add_f64 v[34:35], v[6:7], v[8:9]
	v_mul_f64 v[14:15], v[122:123], s[12:13]
	v_mul_f64 v[12:13], v[12:13], s[4:5]
	;; [unrolled: 1-line block ×3, first 2 shown]
	v_add_f64 v[120:121], v[8:9], -v[6:7]
	v_add_f64 v[6:7], v[78:79], v[2:3]
	v_add_f64 v[2:3], v[62:63], v[70:71]
	v_fmac_f64_e32 v[72:73], s[14:15], v[18:19]
	v_fmac_f64_e32 v[14:15], s[22:23], v[124:125]
	;; [unrolled: 1-line block ×3, first 2 shown]
	v_fma_f64 v[16:17], v[118:119], s[12:13], -v[16:17]
	v_fma_f64 v[4:5], -0.5, v[2:3], v[10:11]
	v_add_f64 v[2:3], v[52:53], -v[76:77]
	v_add_f64 v[36:37], v[64:65], v[14:15]
	v_add_f64 v[46:47], v[72:73], v[12:13]
	;; [unrolled: 1-line block ×3, first 2 shown]
	v_add_f64 v[122:123], v[64:65], -v[14:15]
	v_add_f64 v[124:125], v[72:73], -v[12:13]
	;; [unrolled: 1-line block ×3, first 2 shown]
	v_fma_f64 v[8:9], s[4:5], v[2:3], v[4:5]
	v_add_f64 v[12:13], v[60:61], -v[68:69]
	v_add_f64 v[14:15], v[54:55], -v[62:63]
	;; [unrolled: 1-line block ×3, first 2 shown]
	v_fmac_f64_e32 v[4:5], s[20:21], v[2:3]
	v_fmac_f64_e32 v[8:9], s[12:13], v[12:13]
	v_add_f64 v[14:15], v[14:15], v[16:17]
	v_fmac_f64_e32 v[4:5], s[18:19], v[12:13]
	v_fmac_f64_e32 v[8:9], s[14:15], v[14:15]
	;; [unrolled: 1-line block ×3, first 2 shown]
	v_add_f64 v[14:15], v[54:55], v[78:79]
	v_fmac_f64_e32 v[10:11], -0.5, v[14:15]
	v_fma_f64 v[14:15], s[20:21], v[12:13], v[10:11]
	v_fmac_f64_e32 v[10:11], s[4:5], v[12:13]
	v_fmac_f64_e32 v[14:15], s[12:13], v[2:3]
	;; [unrolled: 1-line block ×3, first 2 shown]
	v_add_f64 v[2:3], v[30:31], v[42:43]
	v_add_f64 v[2:3], v[2:3], v[58:59]
	v_add_f64 v[16:17], v[62:63], -v[54:55]
	v_add_f64 v[18:19], v[70:71], -v[78:79]
	v_add_f64 v[2:3], v[66:67], v[2:3]
	v_add_f64 v[16:17], v[16:17], v[18:19]
	;; [unrolled: 1-line block ×3, first 2 shown]
	v_mul_f64 v[20:21], v[0:1], s[12:13]
	v_mul_f64 v[30:31], v[128:129], s[4:5]
	;; [unrolled: 1-line block ×4, first 2 shown]
	v_fmac_f64_e32 v[14:15], s[14:15], v[16:17]
	v_fmac_f64_e32 v[10:11], s[14:15], v[16:17]
	v_fmac_f64_e32 v[20:21], s[22:23], v[132:133]
	v_fmac_f64_e32 v[30:31], s[14:15], v[136:137]
	v_fma_f64 v[24:25], v[28:29], s[4:5], -v[2:3]
	v_fma_f64 v[26:27], v[44:45], s[12:13], -v[12:13]
	v_add_f64 v[0:1], v[14:15], v[30:31]
	v_add_f64 v[2:3], v[10:11], v[24:25]
	;; [unrolled: 1-line block ×3, first 2 shown]
	v_add_f64 v[18:19], v[6:7], -v[22:23]
	v_add_f64 v[12:13], v[8:9], -v[20:21]
	;; [unrolled: 1-line block ×3, first 2 shown]
	v_add_u32_e32 v38, 0x78, v114
	s_waitcnt lgkmcnt(0)
	s_barrier
	ds_write_b128 v141, v[34:37]
	ds_write_b128 v141, v[46:49] offset:16
	ds_write_b128 v141, v[118:121] offset:32
	;; [unrolled: 1-line block ×4, first 2 shown]
	s_and_saveexec_b64 s[4:5], s[2:3]
	s_cbranch_execz .LBB0_21
; %bb.20:
	v_add_f64 v[6:7], v[6:7], v[22:23]
	v_add_f64 v[22:23], v[4:5], -v[26:27]
	v_mul_u32_u24_e32 v4, 10, v38
	v_lshlrev_b32_e32 v4, 3, v4
	v_add_f64 v[8:9], v[8:9], v[20:21]
	v_add3_u32 v4, 0, v4, v115
	v_add_f64 v[20:21], v[10:11], -v[24:25]
	ds_write_b128 v4, v[6:9]
	ds_write_b128 v4, v[0:3] offset:16
	ds_write_b128 v4, v[16:19] offset:32
	;; [unrolled: 1-line block ×4, first 2 shown]
.LBB0_21:
	s_or_b64 exec, exec, s[4:5]
	v_add_u32_e32 v8, 0xd00, v139
	s_waitcnt lgkmcnt(0)
	s_barrier
	v_add_u32_e32 v4, 0x300, v139
	ds_read2_b64 v[28:31], v8 offset0:24 offset1:224
	v_add_u32_e32 v8, 0x1700, v139
	v_add_u32_e32 v20, 0x2100, v139
	;; [unrolled: 1-line block ×3, first 2 shown]
	ds_read2_b64 v[4:7], v4 offset0:24 offset1:224
	ds_read2_b64 v[8:11], v8 offset0:24 offset1:224
	;; [unrolled: 1-line block ×4, first 2 shown]
	ds_read_b64 v[34:35], v138
	ds_read_b64 v[36:37], v139 offset:13760
	s_and_saveexec_b64 s[2:3], s[0:1]
	s_cbranch_execz .LBB0_23
; %bb.22:
	v_add_u32_e32 v12, 0x180, v139
	ds_read2st64_b64 v[0:3], v12 offset0:3 offset1:8
	ds_read2st64_b64 v[16:19], v12 offset0:13 offset1:18
	;; [unrolled: 1-line block ×3, first 2 shown]
.LBB0_23:
	s_or_b64 exec, exec, s[2:3]
	s_movk_i32 s2, 0xcd
	v_mul_lo_u16_sdwa v39, v114, s2 dst_sel:DWORD dst_unused:UNUSED_PAD src0_sel:BYTE_0 src1_sel:DWORD
	v_lshrrev_b16_e32 v141, 11, v39
	v_mul_lo_u16_sdwa v51, v38, s2 dst_sel:DWORD dst_unused:UNUSED_PAD src0_sel:BYTE_0 src1_sel:DWORD
	v_mul_lo_u16_e32 v39, 10, v141
	v_lshrrev_b16_e32 v163, 11, v51
	v_sub_u16_e32 v162, v114, v39
	v_mov_b32_e32 v39, 5
	v_mul_lo_u16_e32 v51, 10, v163
	v_mul_u32_u24_sdwa v42, v162, v39 dst_sel:DWORD dst_unused:UNUSED_PAD src0_sel:BYTE_0 src1_sel:DWORD
	v_sub_u16_e32 v164, v38, v51
	v_lshlrev_b32_e32 v50, 4, v42
	v_mul_u32_u24_sdwa v38, v164, v39 dst_sel:DWORD dst_unused:UNUSED_PAD src0_sel:BYTE_0 src1_sel:DWORD
	v_add_u32_e32 v39, 0xf0, v114
	s_mov_b32 s2, 0xcccd
	global_load_dwordx4 v[42:45], v50, s[8:9] offset:16
	global_load_dwordx4 v[46:49], v50, s[8:9]
	global_load_dwordx4 v[72:75], v50, s[8:9] offset:48
	global_load_dwordx4 v[76:79], v50, s[8:9] offset:32
	;; [unrolled: 1-line block ×3, first 2 shown]
	v_mul_u32_u24_sdwa v50, v39, s2 dst_sel:DWORD dst_unused:UNUSED_PAD src0_sel:WORD_0 src1_sel:DWORD
	v_lshrrev_b32_e32 v165, 19, v50
	v_mul_lo_u16_e32 v50, 10, v165
	v_lshlrev_b32_e32 v38, 4, v38
	v_sub_u16_e32 v166, v39, v50
	global_load_dwordx4 v[68:71], v38, s[8:9]
	global_load_dwordx4 v[122:125], v38, s[8:9] offset:16
	global_load_dwordx4 v[126:129], v38, s[8:9] offset:32
	;; [unrolled: 1-line block ×4, first 2 shown]
	v_mul_u32_u24_e32 v38, 5, v166
	v_lshlrev_b32_e32 v38, 4, v38
	global_load_dwordx4 v[142:145], v38, s[8:9]
	global_load_dwordx4 v[146:149], v38, s[8:9] offset:16
	global_load_dwordx4 v[150:153], v38, s[8:9] offset:32
	;; [unrolled: 1-line block ×4, first 2 shown]
	s_mov_b32 s4, 0xe8584caa
	s_mov_b32 s5, 0x3febb67a
	;; [unrolled: 1-line block ×4, first 2 shown]
	s_movk_i32 s12, 0x1e0
	s_waitcnt lgkmcnt(0)
	s_barrier
	s_waitcnt vmcnt(14)
	v_mul_f64 v[64:65], v[110:111], v[44:45]
	s_waitcnt vmcnt(13)
	v_mul_f64 v[38:39], v[6:7], v[48:49]
	v_mul_f64 v[56:57], v[86:87], v[48:49]
	;; [unrolled: 1-line block ×3, first 2 shown]
	s_waitcnt vmcnt(11)
	v_mul_f64 v[44:45], v[10:11], v[78:79]
	v_fmac_f64_e32 v[56:57], v[6:7], v[46:47]
	v_mul_f64 v[58:59], v[98:99], v[78:79]
	v_mul_f64 v[78:79], v[22:23], v[74:75]
	;; [unrolled: 1-line block ×3, first 2 shown]
	s_waitcnt vmcnt(9)
	v_mul_f64 v[52:53], v[28:29], v[70:71]
	v_mul_f64 v[50:51], v[108:109], v[70:71]
	v_fma_f64 v[70:71], v[110:111], v[42:43], -v[48:49]
	v_fma_f64 v[48:49], v[108:109], v[68:69], -v[52:53]
	s_waitcnt vmcnt(7)
	v_mul_f64 v[52:53], v[100:101], v[128:129]
	v_fmac_f64_e32 v[50:51], v[28:29], v[68:69]
	s_waitcnt vmcnt(5)
	v_mul_f64 v[28:29], v[40:41], v[136:137]
	v_fma_f64 v[68:69], v[86:87], v[46:47], -v[38:39]
	s_waitcnt vmcnt(4)
	v_mul_f64 v[46:47], v[2:3], v[144:145]
	v_fma_f64 v[86:87], v[98:99], v[76:77], -v[44:45]
	s_waitcnt vmcnt(3)
	v_mul_f64 v[44:45], v[16:17], v[148:149]
	v_fmac_f64_e32 v[64:65], v[30:31], v[42:43]
	v_mul_f64 v[110:111], v[8:9], v[124:125]
	v_mul_f64 v[54:55], v[96:97], v[124:125]
	;; [unrolled: 1-line block ×5, first 2 shown]
	v_fmac_f64_e32 v[52:53], v[20:21], v[126:127]
	v_fmac_f64_e32 v[28:29], v[36:37], v[134:135]
	v_fma_f64 v[20:21], v[82:83], v[142:143], -v[46:47]
	v_fma_f64 v[36:37], v[92:93], v[146:147], -v[44:45]
	s_waitcnt vmcnt(1)
	v_mul_f64 v[46:47], v[88:89], v[156:157]
	s_waitcnt vmcnt(0)
	v_mul_f64 v[44:45], v[90:91], v[160:161]
	v_mul_f64 v[30:31], v[82:83], v[144:145]
	v_fmac_f64_e32 v[58:59], v[10:11], v[76:77]
	v_fma_f64 v[10:11], v[102:103], v[72:73], -v[78:79]
	v_fmac_f64_e32 v[66:67], v[22:23], v[72:73]
	v_mul_f64 v[22:23], v[18:19], v[152:153]
	v_fmac_f64_e32 v[42:43], v[16:17], v[146:147]
	v_mul_f64 v[16:17], v[12:13], v[156:157]
	;; [unrolled: 2-line block ×3, first 2 shown]
	v_fmac_f64_e32 v[44:45], v[14:15], v[158:159]
	v_add_f64 v[14:15], v[32:33], v[70:71]
	v_fmac_f64_e32 v[30:31], v[2:3], v[142:143]
	v_fma_f64 v[2:3], v[94:95], v[150:151], -v[22:23]
	v_add_f64 v[22:23], v[14:15], v[10:11]
	v_add_f64 v[14:15], v[70:71], v[10:11]
	v_mul_f64 v[74:75], v[26:27], v[120:121]
	v_mul_f64 v[60:61], v[104:105], v[132:133]
	v_fmac_f64_e32 v[32:33], -0.5, v[14:15]
	v_add_f64 v[14:15], v[64:65], -v[66:67]
	v_mul_f64 v[62:63], v[106:107], v[120:121]
	v_mul_f64 v[120:121], v[24:25], v[132:133]
	v_fma_f64 v[72:73], v[106:107], v[118:119], -v[74:75]
	v_fmac_f64_e32 v[60:61], v[24:25], v[130:131]
	v_fma_f64 v[24:25], s[4:5], v[14:15], v[32:33]
	v_fmac_f64_e32 v[32:33], s[2:3], v[14:15]
	v_add_f64 v[14:15], v[68:69], v[86:87]
	v_fmac_f64_e32 v[62:63], v[26:27], v[118:119]
	v_add_f64 v[76:77], v[14:15], v[72:73]
	v_add_f64 v[14:15], v[86:87], v[72:73]
	v_fma_f64 v[74:75], v[40:41], v[134:135], -v[124:125]
	v_fma_f64 v[40:41], v[88:89], v[154:155], -v[16:17]
	v_fmac_f64_e32 v[68:69], -0.5, v[14:15]
	v_add_f64 v[16:17], v[58:59], -v[62:63]
	v_fma_f64 v[14:15], s[4:5], v[16:17], v[68:69]
	v_fmac_f64_e32 v[68:69], s[2:3], v[16:17]
	v_add_f64 v[16:17], v[58:59], v[62:63]
	v_mul_f64 v[38:39], v[94:95], v[152:153]
	v_fma_f64 v[16:17], -0.5, v[16:17], v[56:57]
	v_add_f64 v[72:73], v[86:87], -v[72:73]
	v_fmac_f64_e32 v[38:39], v[18:19], v[150:151]
	v_fma_f64 v[18:19], s[2:3], v[72:73], v[16:17]
	v_fma_f64 v[6:7], v[96:97], v[122:123], -v[110:111]
	v_fmac_f64_e32 v[16:17], s[4:5], v[72:73]
	v_mul_f64 v[72:73], v[18:19], s[4:5]
	v_fmac_f64_e32 v[54:55], v[8:9], v[122:123]
	v_fma_f64 v[8:9], v[104:105], v[130:131], -v[120:121]
	v_fma_f64 v[12:13], v[90:91], v[158:159], -v[12:13]
	v_add_f64 v[82:83], v[22:23], v[76:77]
	v_fmac_f64_e32 v[72:73], 0.5, v[14:15]
	v_add_f64 v[90:91], v[22:23], -v[76:77]
	v_add_f64 v[22:23], v[84:85], v[6:7]
	v_add_f64 v[86:87], v[24:25], v[72:73]
	v_add_f64 v[92:93], v[24:25], -v[72:73]
	v_add_f64 v[72:73], v[22:23], v[8:9]
	v_add_f64 v[22:23], v[6:7], v[8:9]
	v_fma_f64 v[26:27], v[100:101], v[126:127], -v[108:109]
	v_mul_f64 v[78:79], v[68:69], -0.5
	v_fmac_f64_e32 v[84:85], -0.5, v[22:23]
	v_add_f64 v[22:23], v[54:55], -v[60:61]
	v_fmac_f64_e32 v[78:79], s[4:5], v[16:17]
	v_fma_f64 v[76:77], s[4:5], v[22:23], v[84:85]
	v_fmac_f64_e32 v[84:85], s[2:3], v[22:23]
	v_add_f64 v[22:23], v[48:49], v[26:27]
	v_add_f64 v[88:89], v[32:33], v[78:79]
	v_add_f64 v[32:33], v[32:33], -v[78:79]
	v_add_f64 v[78:79], v[22:23], v[74:75]
	v_add_f64 v[22:23], v[26:27], v[74:75]
	v_fmac_f64_e32 v[48:49], -0.5, v[22:23]
	v_add_f64 v[24:25], v[52:53], -v[28:29]
	v_fma_f64 v[22:23], s[4:5], v[24:25], v[48:49]
	v_fmac_f64_e32 v[48:49], s[2:3], v[24:25]
	v_add_f64 v[24:25], v[52:53], v[28:29]
	v_fma_f64 v[24:25], -0.5, v[24:25], v[50:51]
	v_add_f64 v[74:75], v[26:27], -v[74:75]
	v_fma_f64 v[26:27], s[2:3], v[74:75], v[24:25]
	v_fmac_f64_e32 v[24:25], s[4:5], v[74:75]
	v_mul_f64 v[74:75], v[26:27], s[4:5]
	v_add_f64 v[94:95], v[72:73], v[78:79]
	v_fmac_f64_e32 v[74:75], 0.5, v[22:23]
	v_add_f64 v[102:103], v[72:73], -v[78:79]
	v_add_f64 v[72:73], v[2:3], v[12:13]
	v_add_f64 v[96:97], v[76:77], v[74:75]
	v_mul_f64 v[98:99], v[48:49], -0.5
	v_add_f64 v[104:105], v[76:77], -v[74:75]
	v_fma_f64 v[72:73], -0.5, v[72:73], v[20:21]
	v_add_f64 v[76:77], v[38:39], -v[44:45]
	v_fmac_f64_e32 v[98:99], s[4:5], v[24:25]
	v_fma_f64 v[74:75], s[4:5], v[76:77], v[72:73]
	v_fmac_f64_e32 v[72:73], s[2:3], v[76:77]
	v_add_f64 v[76:77], v[38:39], v[44:45]
	v_add_f64 v[100:101], v[84:85], v[98:99]
	v_add_f64 v[98:99], v[84:85], -v[98:99]
	v_fma_f64 v[76:77], -0.5, v[76:77], v[30:31]
	v_add_f64 v[84:85], v[2:3], -v[12:13]
	v_fma_f64 v[78:79], s[2:3], v[84:85], v[76:77]
	v_fmac_f64_e32 v[76:77], s[4:5], v[84:85]
	v_mov_b32_e32 v85, 3
	v_mad_u32_u24 v84, v141, s12, 0
	v_lshlrev_b32_sdwa v106, v85, v162 dst_sel:DWORD dst_unused:UNUSED_PAD src0_sel:DWORD src1_sel:BYTE_0
	v_add3_u32 v84, v84, v106, v115
	ds_write2_b64 v84, v[82:83], v[86:87] offset1:10
	ds_write2_b64 v84, v[88:89], v[90:91] offset0:20 offset1:30
	ds_write2_b64 v84, v[92:93], v[32:33] offset0:40 offset1:50
	v_mad_u32_u24 v32, v163, s12, 0
	v_lshlrev_b32_sdwa v33, v85, v164 dst_sel:DWORD dst_unused:UNUSED_PAD src0_sel:DWORD src1_sel:BYTE_0
	v_add3_u32 v85, v32, v33, v115
	v_mul_lo_u16_e32 v82, 60, v165
	v_lshl_add_u32 v83, v166, 3, 0
	ds_write2_b64 v85, v[94:95], v[96:97] offset1:10
	ds_write2_b64 v85, v[100:101], v[102:103] offset0:20 offset1:30
	ds_write2_b64 v85, v[104:105], v[98:99] offset0:40 offset1:50
	s_and_saveexec_b64 s[12:13], s[0:1]
	s_cbranch_execz .LBB0_25
; %bb.24:
	v_add_f64 v[32:33], v[36:37], v[40:41]
	v_fma_f64 v[32:33], -0.5, v[32:33], v[80:81]
	v_add_f64 v[86:87], v[42:43], -v[46:47]
	v_add_f64 v[80:81], v[80:81], v[36:37]
	v_add_f64 v[2:3], v[20:21], v[2:3]
	v_fma_f64 v[88:89], s[2:3], v[86:87], v[32:33]
	v_fmac_f64_e32 v[32:33], s[4:5], v[86:87]
	v_mul_f64 v[86:87], v[78:79], s[4:5]
	v_add_f64 v[80:81], v[80:81], v[40:41]
	v_add_f64 v[2:3], v[2:3], v[12:13]
	v_mul_f64 v[90:91], v[72:73], -0.5
	v_fmac_f64_e32 v[86:87], 0.5, v[74:75]
	v_add_f64 v[12:13], v[80:81], -v[2:3]
	v_add_f64 v[2:3], v[80:81], v[2:3]
	v_lshlrev_b32_e32 v80, 3, v82
	v_fmac_f64_e32 v[90:91], s[4:5], v[76:77]
	v_add_f64 v[94:95], v[32:33], -v[86:87]
	v_add_f64 v[32:33], v[32:33], v[86:87]
	v_add3_u32 v80, v83, v80, v115
	v_add_f64 v[92:93], v[88:89], -v[90:91]
	v_add_f64 v[20:21], v[88:89], v[90:91]
	ds_write2_b64 v80, v[2:3], v[32:33] offset1:10
	ds_write2_b64 v80, v[20:21], v[12:13] offset0:20 offset1:30
	ds_write2_b64 v80, v[94:95], v[92:93] offset0:40 offset1:50
.LBB0_25:
	s_or_b64 exec, exec, s[12:13]
	v_add_f64 v[12:13], v[64:65], v[66:67]
	v_add_f64 v[2:3], v[34:35], v[64:65]
	v_fmac_f64_e32 v[34:35], -0.5, v[12:13]
	v_add_f64 v[10:11], v[70:71], -v[10:11]
	v_fma_f64 v[12:13], s[2:3], v[10:11], v[34:35]
	v_fmac_f64_e32 v[34:35], s[4:5], v[10:11]
	v_add_f64 v[10:11], v[56:57], v[58:59]
	v_add_f64 v[2:3], v[2:3], v[66:67]
	;; [unrolled: 1-line block ×3, first 2 shown]
	v_mul_f64 v[14:15], v[14:15], s[2:3]
	v_add_f64 v[56:57], v[2:3], v[10:11]
	v_fmac_f64_e32 v[14:15], 0.5, v[18:19]
	v_add_f64 v[64:65], v[2:3], -v[10:11]
	v_add_f64 v[10:11], v[54:55], v[60:61]
	v_add_f64 v[58:59], v[12:13], v[14:15]
	v_add_f64 v[66:67], v[12:13], -v[14:15]
	v_add_f64 v[2:3], v[4:5], v[54:55]
	v_fmac_f64_e32 v[4:5], -0.5, v[10:11]
	v_add_f64 v[6:7], v[6:7], -v[8:9]
	v_mul_f64 v[12:13], v[24:25], -0.5
	v_mul_f64 v[16:17], v[16:17], -0.5
	v_fma_f64 v[8:9], s[2:3], v[6:7], v[4:5]
	v_fmac_f64_e32 v[4:5], s[4:5], v[6:7]
	v_add_f64 v[6:7], v[50:51], v[52:53]
	v_mul_f64 v[10:11], v[22:23], s[2:3]
	v_fmac_f64_e32 v[12:13], s[2:3], v[48:49]
	v_add3_u32 v48, 0, v140, v115
	v_fmac_f64_e32 v[16:17], s[2:3], v[68:69]
	v_add_f64 v[2:3], v[2:3], v[60:61]
	v_add_f64 v[6:7], v[6:7], v[28:29]
	v_fmac_f64_e32 v[10:11], 0.5, v[26:27]
	v_add_u32_e32 v49, 0x400, v48
	v_add_u32_e32 v50, 0xc00, v48
	;; [unrolled: 1-line block ×7, first 2 shown]
	v_add_f64 v[62:63], v[34:35], v[16:17]
	v_add_f64 v[68:69], v[34:35], -v[16:17]
	v_add_f64 v[60:61], v[2:3], v[6:7]
	v_add_f64 v[70:71], v[8:9], v[10:11]
	;; [unrolled: 1-line block ×3, first 2 shown]
	v_add_f64 v[86:87], v[2:3], -v[6:7]
	v_add_f64 v[88:89], v[8:9], -v[10:11]
	;; [unrolled: 1-line block ×3, first 2 shown]
	s_waitcnt lgkmcnt(0)
	s_barrier
	ds_read_b64 v[32:33], v138
	ds_read_b64 v[34:35], v139 offset:960
	ds_read2_b64 v[26:29], v49 offset0:112 offset1:232
	ds_read2_b64 v[22:25], v50 offset0:96 offset1:216
	;; [unrolled: 1-line block ×7, first 2 shown]
	s_waitcnt lgkmcnt(0)
	s_barrier
	ds_write2_b64 v84, v[56:57], v[58:59] offset1:10
	ds_write2_b64 v84, v[62:63], v[64:65] offset0:20 offset1:30
	ds_write2_b64 v84, v[66:67], v[68:69] offset0:40 offset1:50
	ds_write2_b64 v85, v[60:61], v[70:71] offset1:10
	ds_write2_b64 v85, v[80:81], v[86:87] offset0:20 offset1:30
	ds_write2_b64 v85, v[88:89], v[90:91] offset0:40 offset1:50
	s_and_saveexec_b64 s[2:3], s[0:1]
	s_cbranch_execz .LBB0_27
; %bb.26:
	s_mov_b32 s0, 0xe8584caa
	v_add_f64 v[56:57], v[0:1], v[42:43]
	v_add_f64 v[42:43], v[42:43], v[46:47]
	s_mov_b32 s1, 0xbfebb67a
	v_fmac_f64_e32 v[0:1], -0.5, v[42:43]
	v_add_f64 v[36:37], v[36:37], -v[40:41]
	v_add_f64 v[30:31], v[30:31], v[38:39]
	v_mul_f64 v[38:39], v[74:75], s[0:1]
	v_fma_f64 v[40:41], s[0:1], v[36:37], v[0:1]
	v_fmac_f64_e32 v[38:39], 0.5, v[78:79]
	v_add_f64 v[56:57], v[56:57], v[46:47]
	s_mov_b32 s5, 0x3febb67a
	s_mov_b32 s4, s0
	v_add_f64 v[30:31], v[30:31], v[44:45]
	v_add_f64 v[42:43], v[40:41], v[38:39]
	v_mul_f64 v[44:45], v[76:77], -0.5
	v_add_f64 v[38:39], v[40:41], -v[38:39]
	v_lshlrev_b32_e32 v40, 3, v82
	v_fmac_f64_e32 v[0:1], s[4:5], v[36:37]
	v_add_f64 v[36:37], v[56:57], v[30:31]
	v_fmac_f64_e32 v[44:45], s[0:1], v[72:73]
	v_add3_u32 v40, v83, v40, v115
	v_add_f64 v[46:47], v[0:1], v[44:45]
	v_add_f64 v[30:31], v[56:57], -v[30:31]
	v_add_f64 v[0:1], v[0:1], -v[44:45]
	ds_write2_b64 v40, v[36:37], v[42:43] offset1:10
	ds_write2_b64 v40, v[46:47], v[30:31] offset0:20 offset1:30
	ds_write2_b64 v40, v[38:39], v[0:1] offset0:40 offset1:50
.LBB0_27:
	s_or_b64 exec, exec, s[2:3]
	v_subrev_u32_e32 v0, 60, v114
	v_cmp_gt_u32_e64 s[0:1], 60, v114
	v_mov_b32_e32 v31, 0
	s_waitcnt lgkmcnt(0)
	v_cndmask_b32_e64 v154, v0, v114, s[0:1]
	v_mul_i32_i24_e32 v30, 15, v154
	v_lshl_add_u64 v[0:1], v[30:31], 4, s[8:9]
	s_barrier
	global_load_dwordx4 v[36:39], v[0:1], off offset:800
	global_load_dwordx4 v[40:43], v[0:1], off offset:816
	;; [unrolled: 1-line block ×15, first 2 shown]
	ds_read_b64 v[0:1], v138
	ds_read_b64 v[140:141], v139 offset:960
	ds_read2_b64 v[104:107], v49 offset0:112 offset1:232
	ds_read2_b64 v[108:111], v50 offset0:96 offset1:216
	;; [unrolled: 1-line block ×7, first 2 shown]
	s_mov_b32 s0, 0x667f3bcd
	s_mov_b32 s1, 0xbfe6a09e
	;; [unrolled: 1-line block ×12, first 2 shown]
	v_mov_b32_e32 v30, 0x3c0
	s_waitcnt lgkmcnt(0)
	s_barrier
	s_waitcnt vmcnt(14)
	v_mul_f64 v[142:143], v[140:141], v[38:39]
	s_waitcnt vmcnt(13)
	v_mul_f64 v[144:145], v[104:105], v[42:43]
	v_mul_f64 v[42:43], v[26:27], v[42:43]
	s_waitcnt vmcnt(11)
	v_mul_f64 v[148:149], v[108:109], v[58:59]
	v_mul_f64 v[58:59], v[22:23], v[58:59]
	;; [unrolled: 1-line block ×5, first 2 shown]
	v_fma_f64 v[26:27], v[26:27], v[40:41], -v[144:145]
	v_fmac_f64_e32 v[42:43], v[104:105], v[40:41]
	s_waitcnt vmcnt(8)
	v_mul_f64 v[40:41], v[120:121], v[70:71]
	v_fmac_f64_e32 v[58:59], v[108:109], v[56:57]
	v_mul_f64 v[152:153], v[118:119], v[66:67]
	s_waitcnt vmcnt(1)
	v_mul_f64 v[108:109], v[134:135], v[98:99]
	v_mul_f64 v[66:67], v[18:19], v[66:67]
	;; [unrolled: 1-line block ×3, first 2 shown]
	v_fma_f64 v[28:29], v[28:29], v[44:45], -v[146:147]
	v_mul_f64 v[104:105], v[122:123], v[74:75]
	v_mul_f64 v[74:75], v[14:15], v[74:75]
	v_fmac_f64_e32 v[46:47], v[106:107], v[44:45]
	v_mul_f64 v[44:45], v[124:125], v[78:79]
	v_mul_f64 v[106:107], v[126:127], v[82:83]
	;; [unrolled: 1-line block ×3, first 2 shown]
	v_fma_f64 v[34:35], v[34:35], v[36:37], -v[142:143]
	v_mul_f64 v[142:143], v[128:129], v[86:87]
	v_fmac_f64_e32 v[38:39], v[140:141], v[36:37]
	v_mul_f64 v[36:37], v[12:13], v[86:87]
	v_mul_f64 v[86:87], v[130:131], v[90:91]
	;; [unrolled: 1-line block ×3, first 2 shown]
	v_fma_f64 v[20:21], v[20:21], v[68:69], -v[40:41]
	v_fma_f64 v[40:41], v[2:3], v[96:97], -v[108:109]
	v_mul_f64 v[2:3], v[2:3], v[98:99]
	v_mul_f64 v[150:151], v[110:111], v[62:63]
	;; [unrolled: 1-line block ×4, first 2 shown]
	v_fma_f64 v[22:23], v[22:23], v[56:57], -v[148:149]
	v_mul_f64 v[56:57], v[132:133], v[94:95]
	v_fma_f64 v[18:19], v[18:19], v[64:65], -v[152:153]
	v_fmac_f64_e32 v[66:67], v[118:119], v[64:65]
	v_fma_f64 v[14:15], v[14:15], v[72:73], -v[104:105]
	v_fmac_f64_e32 v[74:75], v[122:123], v[72:73]
	v_fma_f64 v[16:17], v[16:17], v[76:77], -v[44:45]
	v_fma_f64 v[10:11], v[10:11], v[80:81], -v[106:107]
	v_fmac_f64_e32 v[82:83], v[126:127], v[80:81]
	v_fma_f64 v[6:7], v[6:7], v[88:89], -v[86:87]
	v_fmac_f64_e32 v[90:91], v[130:131], v[88:89]
	v_fmac_f64_e32 v[2:3], v[134:135], v[96:97]
	s_waitcnt vmcnt(0)
	v_mul_f64 v[44:45], v[136:137], v[102:103]
	v_mul_f64 v[94:95], v[8:9], v[94:95]
	v_fma_f64 v[24:25], v[24:25], v[60:61], -v[150:151]
	v_fmac_f64_e32 v[62:63], v[110:111], v[60:61]
	v_fma_f64 v[8:9], v[8:9], v[92:93], -v[56:57]
	v_fma_f64 v[44:45], v[4:5], v[100:101], -v[44:45]
	v_mul_f64 v[4:5], v[4:5], v[102:103]
	v_add_f64 v[14:15], v[32:33], -v[14:15]
	v_add_f64 v[56:57], v[0:1], -v[74:75]
	;; [unrolled: 1-line block ×8, first 2 shown]
	v_fmac_f64_e32 v[70:71], v[120:121], v[68:69]
	v_fmac_f64_e32 v[78:79], v[124:125], v[76:77]
	;; [unrolled: 1-line block ×5, first 2 shown]
	v_fma_f64 v[22:23], v[22:23], 2.0, -v[6:7]
	v_fma_f64 v[58:59], v[58:59], 2.0, -v[60:61]
	;; [unrolled: 1-line block ×4, first 2 shown]
	v_add_f64 v[60:61], v[14:15], -v[60:61]
	v_add_f64 v[6:7], v[56:57], v[6:7]
	v_add_f64 v[2:3], v[10:11], -v[2:3]
	v_add_f64 v[40:41], v[64:65], v[40:41]
	v_fma_f64 v[12:13], v[12:13], v[84:85], -v[142:143]
	v_fma_f64 v[32:33], v[32:33], 2.0, -v[14:15]
	v_fma_f64 v[0:1], v[0:1], 2.0, -v[56:57]
	;; [unrolled: 1-line block ×4, first 2 shown]
	v_add_f64 v[68:69], v[38:39], -v[78:79]
	v_add_f64 v[72:73], v[62:63], -v[94:95]
	;; [unrolled: 1-line block ×4, first 2 shown]
	v_fma_f64 v[14:15], v[14:15], 2.0, -v[60:61]
	v_fma_f64 v[56:57], v[56:57], 2.0, -v[6:7]
	;; [unrolled: 1-line block ×4, first 2 shown]
	v_add_f64 v[16:17], v[34:35], -v[16:17]
	v_fma_f64 v[38:39], v[38:39], 2.0, -v[68:69]
	v_add_f64 v[8:9], v[24:25], -v[8:9]
	v_fma_f64 v[62:63], v[62:63], 2.0, -v[72:73]
	;; [unrolled: 2-line block ×4, first 2 shown]
	v_fma_f64 v[74:75], s[0:1], v[10:11], v[14:15]
	v_fma_f64 v[76:77], s[0:1], v[64:65], v[56:57]
	v_fma_f64 v[24:25], v[24:25], 2.0, -v[8:9]
	v_fma_f64 v[20:21], v[20:21], 2.0, -v[44:45]
	v_add_f64 v[22:23], v[32:33], -v[22:23]
	v_add_f64 v[66:67], v[42:43], -v[66:67]
	;; [unrolled: 1-line block ×4, first 2 shown]
	v_add_f64 v[8:9], v[68:69], v[8:9]
	v_add_f64 v[70:71], v[46:47], -v[70:71]
	v_add_f64 v[4:5], v[12:13], -v[4:5]
	v_add_f64 v[44:45], v[36:37], v[44:45]
	v_fmac_f64_e32 v[74:75], s[0:1], v[64:65]
	v_fmac_f64_e32 v[76:77], s[2:3], v[10:11]
	v_fma_f64 v[64:65], s[2:3], v[2:3], v[60:61]
	v_fma_f64 v[34:35], v[34:35], 2.0, -v[16:17]
	v_fma_f64 v[28:29], v[28:29], 2.0, -v[12:13]
	v_add_f64 v[58:59], v[0:1], -v[58:59]
	v_fma_f64 v[42:43], v[42:43], 2.0, -v[66:67]
	v_fma_f64 v[38:39], v[38:39], 2.0, -v[62:63]
	;; [unrolled: 1-line block ×9, first 2 shown]
	v_add_f64 v[56:57], v[22:23], -v[66:67]
	v_fma_f64 v[66:67], s[2:3], v[40:41], v[6:7]
	v_fmac_f64_e32 v[64:65], s[0:1], v[40:41]
	v_fma_f64 v[0:1], v[0:1], 2.0, -v[58:59]
	v_fmac_f64_e32 v[66:67], s[2:3], v[2:3]
	v_fma_f64 v[2:3], v[60:61], 2.0, -v[64:65]
	v_add_f64 v[40:41], v[38:39], -v[46:47]
	v_fma_f64 v[46:47], s[0:1], v[12:13], v[16:17]
	v_fma_f64 v[60:61], s[0:1], v[36:37], v[68:69]
	v_add_f64 v[18:19], v[26:27], -v[18:19]
	v_add_f64 v[20:21], v[28:29], -v[20:21]
	;; [unrolled: 1-line block ×3, first 2 shown]
	v_fmac_f64_e32 v[46:47], s[0:1], v[36:37]
	v_fmac_f64_e32 v[60:61], s[2:3], v[12:13]
	v_fma_f64 v[26:27], v[26:27], 2.0, -v[18:19]
	v_add_f64 v[24:25], v[34:35], -v[24:25]
	v_fma_f64 v[28:29], v[28:29], 2.0, -v[20:21]
	v_fma_f64 v[0:1], v[0:1], 2.0, -v[42:43]
	v_add_f64 v[18:19], v[58:59], v[18:19]
	v_fma_f64 v[38:39], v[38:39], 2.0, -v[40:41]
	v_fma_f64 v[12:13], v[16:17], 2.0, -v[46:47]
	;; [unrolled: 1-line block ×3, first 2 shown]
	v_add_f64 v[20:21], v[62:63], v[20:21]
	v_fma_f64 v[68:69], s[2:3], v[4:5], v[72:73]
	v_fma_f64 v[58:59], v[58:59], 2.0, -v[18:19]
	v_add_f64 v[36:37], v[24:25], -v[70:71]
	v_fma_f64 v[62:63], v[62:63], 2.0, -v[20:21]
	v_fma_f64 v[70:71], s[2:3], v[44:45], v[8:9]
	v_fmac_f64_e32 v[68:69], s[0:1], v[44:45]
	v_add_f64 v[44:45], v[0:1], -v[38:39]
	v_fma_f64 v[32:33], v[32:33], 2.0, -v[22:23]
	v_fma_f64 v[34:35], v[34:35], 2.0, -v[24:25]
	v_fma_f64 v[22:23], v[22:23], 2.0, -v[56:57]
	v_fma_f64 v[24:25], v[24:25], 2.0, -v[36:37]
	v_fmac_f64_e32 v[70:71], s[2:3], v[4:5]
	v_fma_f64 v[4:5], v[72:73], 2.0, -v[68:69]
	v_fma_f64 v[72:73], v[0:1], 2.0, -v[44:45]
	v_fma_f64 v[0:1], s[4:5], v[12:13], v[10:11]
	v_fma_f64 v[78:79], s[4:5], v[16:17], v[14:15]
	v_fma_f64 v[82:83], s[0:1], v[62:63], v[58:59]
	v_fma_f64 v[6:7], v[6:7], 2.0, -v[66:67]
	v_add_f64 v[28:29], v[34:35], -v[28:29]
	v_fma_f64 v[8:9], v[8:9], 2.0, -v[70:71]
	v_fmac_f64_e32 v[0:1], s[12:13], v[16:17]
	v_fmac_f64_e32 v[78:79], s[14:15], v[12:13]
	v_fma_f64 v[12:13], s[0:1], v[24:25], v[22:23]
	v_fmac_f64_e32 v[82:83], s[2:3], v[24:25]
	v_fma_f64 v[16:17], s[12:13], v[4:5], v[2:3]
	v_fma_f64 v[24:25], s[2:3], v[36:37], v[56:57]
	v_add_f64 v[26:27], v[32:33], -v[26:27]
	v_fma_f64 v[34:35], v[34:35], 2.0, -v[28:29]
	v_fmac_f64_e32 v[12:13], s[0:1], v[62:63]
	v_fma_f64 v[62:63], s[12:13], v[8:9], v[6:7]
	v_fmac_f64_e32 v[16:17], s[4:5], v[8:9]
	v_add_f64 v[28:29], v[42:43], v[28:29]
	v_fma_f64 v[8:9], s[14:15], v[46:47], v[74:75]
	v_fmac_f64_e32 v[24:25], s[0:1], v[20:21]
	v_cmp_lt_u32_e64 s[0:1], 59, v114
	v_fmac_f64_e32 v[62:63], s[18:19], v[4:5]
	v_add_f64 v[4:5], v[26:27], -v[40:41]
	v_fma_f64 v[40:41], v[42:43], 2.0, -v[28:29]
	v_fma_f64 v[42:43], s[14:15], v[60:61], v[76:77]
	v_fmac_f64_e32 v[8:9], s[4:5], v[60:61]
	v_fma_f64 v[60:61], s[2:3], v[20:21], v[18:19]
	v_cndmask_b32_e64 v30, 0, v30, s[0:1]
	v_fmac_f64_e32 v[60:61], s[2:3], v[36:37]
	v_or_b32_e32 v30, v30, v154
	v_fma_f64 v[32:33], v[32:33], 2.0, -v[26:27]
	v_fma_f64 v[80:81], v[14:15], 2.0, -v[78:79]
	;; [unrolled: 1-line block ×6, first 2 shown]
	v_fma_f64 v[18:19], s[18:19], v[68:69], v[64:65]
	v_fma_f64 v[74:75], s[18:19], v[70:71], v[66:67]
	v_lshlrev_b32_e32 v30, 3, v30
	v_add_f64 v[34:35], v[32:33], -v[34:35]
	v_fmac_f64_e32 v[18:19], s[12:13], v[70:71]
	v_fmac_f64_e32 v[74:75], s[14:15], v[68:69]
	v_add3_u32 v30, 0, v30, v115
	v_fma_f64 v[32:33], v[32:33], 2.0, -v[34:35]
	v_fma_f64 v[10:11], v[10:11], 2.0, -v[0:1]
	;; [unrolled: 1-line block ×6, first 2 shown]
	v_add_u32_e32 v66, 0xc00, v30
	v_fma_f64 v[2:3], v[2:3], 2.0, -v[16:17]
	ds_write2_b64 v30, v[32:33], v[10:11] offset1:60
	ds_write2_b64 v30, v[14:15], v[2:3] offset0:120 offset1:180
	v_add_u32_e32 v32, 0x400, v30
	v_add_u32_e32 v33, 0x800, v30
	ds_write2_b64 v66, v[34:35], v[0:1] offset0:96 offset1:156
	v_add_u32_e32 v34, 0x1000, v30
	v_add_u32_e32 v35, 0x1400, v30
	;; [unrolled: 1-line block ×3, first 2 shown]
	ds_write2_b64 v32, v[6:7], v[22:23] offset0:112 offset1:172
	ds_write2_b64 v33, v[20:21], v[26:27] offset0:104 offset1:164
	;; [unrolled: 1-line block ×5, first 2 shown]
	s_waitcnt lgkmcnt(0)
	s_barrier
	ds_read2_b64 v[0:3], v55 offset0:64 offset1:184
	ds_read_b64 v[36:37], v138
	ds_read_b64 v[38:39], v139 offset:960
	ds_read2_b64 v[4:7], v49 offset0:112 offset1:232
	ds_read2_b64 v[8:11], v52 offset0:48 offset1:168
	;; [unrolled: 1-line block ×6, first 2 shown]
	v_fmac_f64_e32 v[42:43], s[18:19], v[46:47]
	v_fma_f64 v[58:59], v[58:59], 2.0, -v[82:83]
	v_fma_f64 v[46:47], v[76:77], 2.0, -v[42:43]
	s_waitcnt lgkmcnt(0)
	s_barrier
	ds_write2_b64 v30, v[72:73], v[80:81] offset1:60
	ds_write2_b64 v30, v[58:59], v[84:85] offset0:120 offset1:180
	ds_write2_b64 v32, v[40:41], v[46:47] offset0:112 offset1:172
	;; [unrolled: 1-line block ×7, first 2 shown]
	s_waitcnt lgkmcnt(0)
	s_barrier
	s_and_saveexec_b64 s[0:1], vcc
	s_cbranch_execz .LBB0_29
; %bb.28:
	v_add_u32_e32 v30, 0x348, v114
	v_lshl_add_u64 v[34:35], v[30:31], 4, s[8:9]
	s_movk_i32 s0, 0x3000
	v_add_u32_e32 v32, 0x2d0, v114
	v_add_co_u32_e32 v44, vcc, s0, v34
	v_mov_b32_e32 v33, v31
	s_nop 0
	v_addc_co_u32_e32 v45, vcc, 0, v35, vcc
	v_lshl_add_u64 v[32:33], v[32:33], 4, s[8:9]
	v_add_u32_e32 v28, 0x258, v114
	v_add_co_u32_e32 v46, vcc, s0, v32
	v_mov_b32_e32 v29, v31
	s_nop 0
	v_addc_co_u32_e32 v47, vcc, 0, v33, vcc
	v_lshl_add_u64 v[28:29], v[28:29], 4, s[8:9]
	v_add_co_u32_e32 v28, vcc, s0, v28
	global_load_dwordx4 v[32:35], v[44:45], off offset:2912
	global_load_dwordx4 v[40:43], v[46:47], off offset:2912
	v_addc_co_u32_e32 v29, vcc, 0, v29, vcc
	global_load_dwordx4 v[44:47], v[28:29], off offset:2912
	v_add_u32_e32 v28, 0x1e0, v114
	v_mov_b32_e32 v29, v31
	v_lshl_add_u64 v[28:29], v[28:29], 4, s[8:9]
	v_add_co_u32_e32 v28, vcc, s0, v28
	v_mov_b32_e32 v115, v31
	s_nop 0
	v_addc_co_u32_e32 v29, vcc, 0, v29, vcc
	global_load_dwordx4 v[50:53], v[28:29], off offset:2912
	v_add_u32_e32 v28, 0x168, v114
	v_mov_b32_e32 v29, v31
	v_lshl_add_u64 v[28:29], v[28:29], 4, s[8:9]
	v_add_co_u32_e32 v28, vcc, s0, v28
	s_movk_i32 s1, 0x4000
	s_nop 0
	v_addc_co_u32_e32 v29, vcc, 0, v29, vcc
	global_load_dwordx4 v[54:57], v[28:29], off offset:2912
	v_lshl_add_u64 v[28:29], v[114:115], 4, s[8:9]
	v_add_co_u32_e32 v30, vcc, s1, v28
	v_add_u32_e32 v74, 0xc00, v48
	s_nop 0
	v_addc_co_u32_e32 v31, vcc, 0, v29, vcc
	global_load_dwordx4 v[58:61], v[30:31], off offset:2656
	global_load_dwordx4 v[62:65], v[30:31], off offset:736
	v_add_co_u32_e32 v28, vcc, s0, v28
	v_mad_u64_u32 v[82:83], s[0:1], s10, v116, 0
	s_nop 0
	v_addc_co_u32_e32 v29, vcc, 0, v29, vcc
	global_load_dwordx4 v[66:69], v[28:29], off offset:2912
	v_mul_lo_u32 v28, s11, v116
	v_mul_lo_u32 v29, s10, v117
	v_add_u32_e32 v30, 0x3400, v48
	v_add_u32_e32 v78, 0x2c00, v48
	;; [unrolled: 1-line block ×3, first 2 shown]
	v_add3_u32 v83, v83, v29, v28
	ds_read2_b64 v[28:31], v30 offset0:16 offset1:136
	ds_read2_b64 v[70:73], v49 offset0:80 offset1:200
	;; [unrolled: 1-line block ×4, first 2 shown]
	v_add_u32_e32 v49, 0x400, v48
	s_mov_b32 s0, 0x88888889
	s_movk_i32 s1, 0x780
	s_waitcnt vmcnt(7)
	v_mul_f64 v[84:85], v[26:27], v[34:35]
	s_waitcnt vmcnt(6)
	v_mul_f64 v[86:87], v[24:25], v[42:43]
	s_waitcnt lgkmcnt(3)
	v_mul_f64 v[42:43], v[28:29], v[42:43]
	v_mul_f64 v[34:35], v[30:31], v[34:35]
	v_fmac_f64_e32 v[86:87], v[28:29], v[40:41]
	v_fma_f64 v[28:29], v[24:25], v[40:41], -v[42:43]
	s_waitcnt vmcnt(5) lgkmcnt(0)
	v_mul_f64 v[40:41], v[80:81], v[46:47]
	v_mul_f64 v[88:89], v[18:19], v[46:47]
	v_fmac_f64_e32 v[84:85], v[30:31], v[32:33]
	v_fma_f64 v[30:31], v[26:27], v[32:33], -v[34:35]
	v_fma_f64 v[18:19], v[18:19], v[44:45], -v[40:41]
	v_fmac_f64_e32 v[88:89], v[80:81], v[44:45]
	v_add_f64 v[24:25], v[22:23], -v[30:31]
	v_add_f64 v[34:35], v[70:71], -v[86:87]
	;; [unrolled: 1-line block ×3, first 2 shown]
	s_waitcnt vmcnt(4)
	v_mul_f64 v[44:45], v[78:79], v[52:53]
	v_add_f64 v[32:33], v[20:21], -v[28:29]
	v_fma_f64 v[28:29], v[22:23], 2.0, -v[24:25]
	v_fma_f64 v[22:23], v[70:71], 2.0, -v[34:35]
	;; [unrolled: 1-line block ×3, first 2 shown]
	v_mul_f64 v[14:15], v[16:17], v[52:53]
	v_fma_f64 v[16:17], v[16:17], v[50:51], -v[44:45]
	v_add_u32_e32 v44, 0x2400, v48
	v_fmac_f64_e32 v[14:15], v[78:79], v[50:51]
	ds_read2_b64 v[44:47], v44 offset0:48 offset1:168
	ds_read2_b64 v[48:51], v49 offset0:112 offset1:232
	s_waitcnt vmcnt(3)
	v_mul_f64 v[52:53], v[10:11], v[56:57]
	v_add_f64 v[26:27], v[72:73], -v[84:85]
	v_add_f64 v[42:43], v[76:77], -v[88:89]
	s_waitcnt lgkmcnt(1)
	v_fmac_f64_e32 v[52:53], v[46:47], v[54:55]
	v_mul_f64 v[46:47], v[46:47], v[56:57]
	s_waitcnt lgkmcnt(0)
	v_add_f64 v[52:53], v[50:51], -v[52:53]
	v_fma_f64 v[10:11], v[10:11], v[54:55], -v[46:47]
	v_fma_f64 v[30:31], v[72:73], 2.0, -v[26:27]
	v_fma_f64 v[72:73], v[76:77], 2.0, -v[42:43]
	v_add_f64 v[18:19], v[74:75], -v[14:15]
	v_fma_f64 v[76:77], v[50:51], 2.0, -v[52:53]
	v_add_f64 v[50:51], v[6:7], -v[10:11]
	v_fma_f64 v[14:15], v[74:75], 2.0, -v[18:19]
	v_fma_f64 v[74:75], v[6:7], 2.0, -v[50:51]
	s_waitcnt vmcnt(2)
	v_mul_f64 v[6:7], v[8:9], v[60:61]
	v_fmac_f64_e32 v[6:7], v[44:45], v[58:59]
	v_mul_f64 v[44:45], v[44:45], v[60:61]
	v_fma_f64 v[8:9], v[8:9], v[58:59], -v[44:45]
	v_add_u32_e32 v44, 0x1c00, v139
	ds_read2_b64 v[44:47], v44 offset0:64 offset1:184
	v_add_f64 v[10:11], v[48:49], -v[6:7]
	v_fma_f64 v[6:7], v[48:49], 2.0, -v[10:11]
	s_waitcnt vmcnt(1)
	v_mul_f64 v[48:49], v[2:3], v[64:65]
	ds_read_b64 v[54:55], v139 offset:960
	ds_read_b64 v[58:59], v138
	s_waitcnt lgkmcnt(2)
	v_fmac_f64_e32 v[48:49], v[46:47], v[62:63]
	v_mul_f64 v[46:47], v[46:47], v[64:65]
	v_fma_f64 v[2:3], v[2:3], v[62:63], -v[46:47]
	v_add_f64 v[46:47], v[38:39], -v[2:3]
	s_waitcnt vmcnt(0)
	v_mul_f64 v[2:3], v[0:1], v[68:69]
	v_fmac_f64_e32 v[2:3], v[44:45], v[66:67]
	v_mul_f64 v[44:45], v[44:45], v[68:69]
	v_fma_f64 v[0:1], v[0:1], v[66:67], -v[44:45]
	v_mul_hi_u32 v44, v114, s0
	v_lshrrev_b32_e32 v44, 9, v44
	v_mul_u32_u24_e32 v44, 0x3c0, v44
	v_sub_u32_e32 v60, v114, v44
	s_waitcnt lgkmcnt(1)
	v_add_f64 v[48:49], v[54:55], -v[48:49]
	s_waitcnt lgkmcnt(0)
	v_add_f64 v[2:3], v[58:59], -v[2:3]
	v_mad_u64_u32 v[44:45], s[2:3], s16, v60, 0
	v_fma_f64 v[56:57], v[54:55], 2.0, -v[48:49]
	v_fma_f64 v[54:55], v[38:39], 2.0, -v[46:47]
	;; [unrolled: 1-line block ×3, first 2 shown]
	v_mov_b32_e32 v58, v45
	v_mad_u64_u32 v[58:59], s[2:3], s17, v60, v[58:59]
	v_mov_b32_e32 v45, v58
	v_lshl_add_u64 v[58:59], v[82:83], 4, s[6:7]
	v_add_f64 v[0:1], v[36:37], -v[0:1]
	v_lshl_add_u64 v[58:59], v[112:113], 4, v[58:59]
	v_fma_f64 v[36:37], v[36:37], 2.0, -v[0:1]
	v_lshl_add_u64 v[44:45], v[44:45], 4, v[58:59]
	global_store_dwordx4 v[44:45], v[36:39], off
	v_add_f64 v[8:9], v[4:5], -v[8:9]
	v_fma_f64 v[4:5], v[4:5], 2.0, -v[8:9]
	v_add_u32_e32 v39, 0x3c0, v60
	v_mad_u64_u32 v[36:37], s[2:3], s16, v39, 0
	v_mov_b32_e32 v38, v37
	v_mad_u64_u32 v[38:39], s[2:3], s17, v39, v[38:39]
	v_mov_b32_e32 v37, v38
	v_lshl_add_u64 v[36:37], v[36:37], 4, v[58:59]
	global_store_dwordx4 v[36:37], v[0:3], off
	v_add_f64 v[16:17], v[12:13], -v[16:17]
	v_fma_f64 v[12:13], v[12:13], 2.0, -v[16:17]
	v_add_u32_e32 v0, 0x78, v114
	v_mul_hi_u32 v1, v0, s0
	v_lshrrev_b32_e32 v1, 9, v1
	v_mul_u32_u24_e32 v2, 0x3c0, v1
	v_sub_u32_e32 v0, v0, v2
	v_mad_u32_u24 v36, v1, s1, v0
	v_mad_u64_u32 v[0:1], s[2:3], s16, v36, 0
	v_mov_b32_e32 v2, v1
	v_mad_u64_u32 v[2:3], s[2:3], s17, v36, v[2:3]
	v_mov_b32_e32 v1, v2
	v_lshl_add_u64 v[0:1], v[0:1], 4, v[58:59]
	v_add_u32_e32 v3, 0x3c0, v36
	global_store_dwordx4 v[0:1], v[54:57], off
	v_mad_u64_u32 v[0:1], s[2:3], s16, v3, 0
	v_mov_b32_e32 v2, v1
	v_mad_u64_u32 v[2:3], s[2:3], s17, v3, v[2:3]
	v_mov_b32_e32 v1, v2
	v_lshl_add_u64 v[0:1], v[0:1], 4, v[58:59]
	global_store_dwordx4 v[0:1], v[46:49], off
	v_add_u32_e32 v0, 0xf0, v114
	v_mul_hi_u32 v1, v0, s0
	v_lshrrev_b32_e32 v1, 9, v1
	v_mul_u32_u24_e32 v2, 0x3c0, v1
	v_sub_u32_e32 v0, v0, v2
	v_mad_u32_u24 v36, v1, s1, v0
	v_mad_u64_u32 v[0:1], s[2:3], s16, v36, 0
	v_mov_b32_e32 v2, v1
	v_mad_u64_u32 v[2:3], s[2:3], s17, v36, v[2:3]
	v_mov_b32_e32 v1, v2
	v_lshl_add_u64 v[0:1], v[0:1], 4, v[58:59]
	v_add_u32_e32 v3, 0x3c0, v36
	global_store_dwordx4 v[0:1], v[4:7], off
	v_mad_u64_u32 v[0:1], s[2:3], s16, v3, 0
	v_mov_b32_e32 v2, v1
	v_mad_u64_u32 v[2:3], s[2:3], s17, v3, v[2:3]
	v_mov_b32_e32 v1, v2
	v_lshl_add_u64 v[0:1], v[0:1], 4, v[58:59]
	global_store_dwordx4 v[0:1], v[8:11], off
	v_add_u32_e32 v0, 0x168, v114
	v_mul_hi_u32 v1, v0, s0
	v_lshrrev_b32_e32 v1, 9, v1
	v_mul_u32_u24_e32 v2, 0x3c0, v1
	v_sub_u32_e32 v0, v0, v2
	v_mad_u32_u24 v4, v1, s1, v0
	v_mad_u64_u32 v[0:1], s[2:3], s16, v4, 0
	v_mov_b32_e32 v2, v1
	v_mad_u64_u32 v[2:3], s[2:3], s17, v4, v[2:3]
	v_mov_b32_e32 v1, v2
	v_lshl_add_u64 v[0:1], v[0:1], 4, v[58:59]
	v_add_u32_e32 v3, 0x3c0, v4
	global_store_dwordx4 v[0:1], v[74:77], off
	v_mad_u64_u32 v[0:1], s[2:3], s16, v3, 0
	v_mov_b32_e32 v2, v1
	v_mad_u64_u32 v[2:3], s[2:3], s17, v3, v[2:3]
	v_mov_b32_e32 v1, v2
	v_lshl_add_u64 v[0:1], v[0:1], 4, v[58:59]
	global_store_dwordx4 v[0:1], v[50:53], off
	v_add_u32_e32 v0, 0x1e0, v114
	v_mul_hi_u32 v1, v0, s0
	v_lshrrev_b32_e32 v1, 9, v1
	v_mul_u32_u24_e32 v2, 0x3c0, v1
	v_sub_u32_e32 v0, v0, v2
	v_mad_u32_u24 v4, v1, s1, v0
	v_mad_u64_u32 v[0:1], s[2:3], s16, v4, 0
	v_mov_b32_e32 v2, v1
	v_mad_u64_u32 v[2:3], s[2:3], s17, v4, v[2:3]
	v_mov_b32_e32 v1, v2
	v_lshl_add_u64 v[0:1], v[0:1], 4, v[58:59]
	v_add_u32_e32 v3, 0x3c0, v4
	global_store_dwordx4 v[0:1], v[12:15], off
	v_mad_u64_u32 v[0:1], s[2:3], s16, v3, 0
	v_mov_b32_e32 v2, v1
	v_mad_u64_u32 v[2:3], s[2:3], s17, v3, v[2:3]
	v_mov_b32_e32 v1, v2
	v_lshl_add_u64 v[0:1], v[0:1], 4, v[58:59]
	global_store_dwordx4 v[0:1], v[16:19], off
	v_add_u32_e32 v0, 0x258, v114
	v_mul_hi_u32 v1, v0, s0
	v_lshrrev_b32_e32 v1, 9, v1
	v_mul_u32_u24_e32 v2, 0x3c0, v1
	v_sub_u32_e32 v0, v0, v2
	v_mad_u32_u24 v4, v1, s1, v0
	v_mad_u64_u32 v[0:1], s[2:3], s16, v4, 0
	v_mov_b32_e32 v2, v1
	v_mad_u64_u32 v[2:3], s[2:3], s17, v4, v[2:3]
	v_mov_b32_e32 v1, v2
	v_lshl_add_u64 v[0:1], v[0:1], 4, v[58:59]
	v_add_u32_e32 v3, 0x3c0, v4
	global_store_dwordx4 v[0:1], v[70:73], off
	v_mad_u64_u32 v[0:1], s[2:3], s16, v3, 0
	v_mov_b32_e32 v2, v1
	v_mad_u64_u32 v[2:3], s[2:3], s17, v3, v[2:3]
	v_mov_b32_e32 v1, v2
	v_lshl_add_u64 v[0:1], v[0:1], 4, v[58:59]
	global_store_dwordx4 v[0:1], v[40:43], off
	v_add_u32_e32 v0, 0x2d0, v114
	v_mul_hi_u32 v1, v0, s0
	v_lshrrev_b32_e32 v1, 9, v1
	v_mul_u32_u24_e32 v2, 0x3c0, v1
	v_sub_u32_e32 v0, v0, v2
	v_mad_u32_u24 v4, v1, s1, v0
	v_mad_u64_u32 v[0:1], s[2:3], s16, v4, 0
	v_mov_b32_e32 v2, v1
	v_mad_u64_u32 v[2:3], s[2:3], s17, v4, v[2:3]
	v_mov_b32_e32 v1, v2
	v_fma_f64 v[20:21], v[20:21], 2.0, -v[32:33]
	v_lshl_add_u64 v[0:1], v[0:1], 4, v[58:59]
	v_add_u32_e32 v3, 0x3c0, v4
	global_store_dwordx4 v[0:1], v[20:23], off
	v_mad_u64_u32 v[0:1], s[2:3], s16, v3, 0
	v_mov_b32_e32 v2, v1
	v_mad_u64_u32 v[2:3], s[2:3], s17, v3, v[2:3]
	v_mov_b32_e32 v1, v2
	v_lshl_add_u64 v[0:1], v[0:1], 4, v[58:59]
	global_store_dwordx4 v[0:1], v[32:35], off
	v_add_u32_e32 v0, 0x348, v114
	v_mul_hi_u32 v1, v0, s0
	v_lshrrev_b32_e32 v1, 9, v1
	v_mul_u32_u24_e32 v2, 0x3c0, v1
	v_sub_u32_e32 v0, v0, v2
	v_mad_u32_u24 v4, v1, s1, v0
	v_mad_u64_u32 v[0:1], s[0:1], s16, v4, 0
	v_mov_b32_e32 v2, v1
	v_mad_u64_u32 v[2:3], s[0:1], s17, v4, v[2:3]
	v_mov_b32_e32 v1, v2
	v_lshl_add_u64 v[0:1], v[0:1], 4, v[58:59]
	v_add_u32_e32 v3, 0x3c0, v4
	global_store_dwordx4 v[0:1], v[28:31], off
	v_mad_u64_u32 v[0:1], s[0:1], s16, v3, 0
	v_mov_b32_e32 v2, v1
	v_mad_u64_u32 v[2:3], s[0:1], s17, v3, v[2:3]
	v_mov_b32_e32 v1, v2
	v_lshl_add_u64 v[0:1], v[0:1], 4, v[58:59]
	global_store_dwordx4 v[0:1], v[24:27], off
.LBB0_29:
	s_endpgm
	.section	.rodata,"a",@progbits
	.p2align	6, 0x0
	.amdhsa_kernel fft_rtc_fwd_len1920_factors_10_6_16_2_wgs_240_tpt_120_halfLds_dp_op_CI_CI_sbrr_dirReg
		.amdhsa_group_segment_fixed_size 0
		.amdhsa_private_segment_fixed_size 0
		.amdhsa_kernarg_size 104
		.amdhsa_user_sgpr_count 2
		.amdhsa_user_sgpr_dispatch_ptr 0
		.amdhsa_user_sgpr_queue_ptr 0
		.amdhsa_user_sgpr_kernarg_segment_ptr 1
		.amdhsa_user_sgpr_dispatch_id 0
		.amdhsa_user_sgpr_kernarg_preload_length 0
		.amdhsa_user_sgpr_kernarg_preload_offset 0
		.amdhsa_user_sgpr_private_segment_size 0
		.amdhsa_uses_dynamic_stack 0
		.amdhsa_enable_private_segment 0
		.amdhsa_system_sgpr_workgroup_id_x 1
		.amdhsa_system_sgpr_workgroup_id_y 0
		.amdhsa_system_sgpr_workgroup_id_z 0
		.amdhsa_system_sgpr_workgroup_info 0
		.amdhsa_system_vgpr_workitem_id 0
		.amdhsa_next_free_vgpr 167
		.amdhsa_next_free_sgpr 32
		.amdhsa_accum_offset 168
		.amdhsa_reserve_vcc 1
		.amdhsa_float_round_mode_32 0
		.amdhsa_float_round_mode_16_64 0
		.amdhsa_float_denorm_mode_32 3
		.amdhsa_float_denorm_mode_16_64 3
		.amdhsa_dx10_clamp 1
		.amdhsa_ieee_mode 1
		.amdhsa_fp16_overflow 0
		.amdhsa_tg_split 0
		.amdhsa_exception_fp_ieee_invalid_op 0
		.amdhsa_exception_fp_denorm_src 0
		.amdhsa_exception_fp_ieee_div_zero 0
		.amdhsa_exception_fp_ieee_overflow 0
		.amdhsa_exception_fp_ieee_underflow 0
		.amdhsa_exception_fp_ieee_inexact 0
		.amdhsa_exception_int_div_zero 0
	.end_amdhsa_kernel
	.text
.Lfunc_end0:
	.size	fft_rtc_fwd_len1920_factors_10_6_16_2_wgs_240_tpt_120_halfLds_dp_op_CI_CI_sbrr_dirReg, .Lfunc_end0-fft_rtc_fwd_len1920_factors_10_6_16_2_wgs_240_tpt_120_halfLds_dp_op_CI_CI_sbrr_dirReg
                                        ; -- End function
	.section	.AMDGPU.csdata,"",@progbits
; Kernel info:
; codeLenInByte = 11524
; NumSgprs: 38
; NumVgprs: 167
; NumAgprs: 0
; TotalNumVgprs: 167
; ScratchSize: 0
; MemoryBound: 1
; FloatMode: 240
; IeeeMode: 1
; LDSByteSize: 0 bytes/workgroup (compile time only)
; SGPRBlocks: 4
; VGPRBlocks: 20
; NumSGPRsForWavesPerEU: 38
; NumVGPRsForWavesPerEU: 167
; AccumOffset: 168
; Occupancy: 3
; WaveLimiterHint : 1
; COMPUTE_PGM_RSRC2:SCRATCH_EN: 0
; COMPUTE_PGM_RSRC2:USER_SGPR: 2
; COMPUTE_PGM_RSRC2:TRAP_HANDLER: 0
; COMPUTE_PGM_RSRC2:TGID_X_EN: 1
; COMPUTE_PGM_RSRC2:TGID_Y_EN: 0
; COMPUTE_PGM_RSRC2:TGID_Z_EN: 0
; COMPUTE_PGM_RSRC2:TIDIG_COMP_CNT: 0
; COMPUTE_PGM_RSRC3_GFX90A:ACCUM_OFFSET: 41
; COMPUTE_PGM_RSRC3_GFX90A:TG_SPLIT: 0
	.text
	.p2alignl 6, 3212836864
	.fill 256, 4, 3212836864
	.type	__hip_cuid_4dca94623c99ad47,@object ; @__hip_cuid_4dca94623c99ad47
	.section	.bss,"aw",@nobits
	.globl	__hip_cuid_4dca94623c99ad47
__hip_cuid_4dca94623c99ad47:
	.byte	0                               ; 0x0
	.size	__hip_cuid_4dca94623c99ad47, 1

	.ident	"AMD clang version 19.0.0git (https://github.com/RadeonOpenCompute/llvm-project roc-6.4.0 25133 c7fe45cf4b819c5991fe208aaa96edf142730f1d)"
	.section	".note.GNU-stack","",@progbits
	.addrsig
	.addrsig_sym __hip_cuid_4dca94623c99ad47
	.amdgpu_metadata
---
amdhsa.kernels:
  - .agpr_count:     0
    .args:
      - .actual_access:  read_only
        .address_space:  global
        .offset:         0
        .size:           8
        .value_kind:     global_buffer
      - .offset:         8
        .size:           8
        .value_kind:     by_value
      - .actual_access:  read_only
        .address_space:  global
        .offset:         16
        .size:           8
        .value_kind:     global_buffer
      - .actual_access:  read_only
        .address_space:  global
        .offset:         24
        .size:           8
        .value_kind:     global_buffer
      - .actual_access:  read_only
        .address_space:  global
        .offset:         32
        .size:           8
        .value_kind:     global_buffer
      - .offset:         40
        .size:           8
        .value_kind:     by_value
      - .actual_access:  read_only
        .address_space:  global
        .offset:         48
        .size:           8
        .value_kind:     global_buffer
      - .actual_access:  read_only
        .address_space:  global
        .offset:         56
        .size:           8
        .value_kind:     global_buffer
      - .offset:         64
        .size:           4
        .value_kind:     by_value
      - .actual_access:  read_only
        .address_space:  global
        .offset:         72
        .size:           8
        .value_kind:     global_buffer
      - .actual_access:  read_only
        .address_space:  global
        .offset:         80
        .size:           8
        .value_kind:     global_buffer
      - .actual_access:  read_only
        .address_space:  global
        .offset:         88
        .size:           8
        .value_kind:     global_buffer
      - .actual_access:  write_only
        .address_space:  global
        .offset:         96
        .size:           8
        .value_kind:     global_buffer
    .group_segment_fixed_size: 0
    .kernarg_segment_align: 8
    .kernarg_segment_size: 104
    .language:       OpenCL C
    .language_version:
      - 2
      - 0
    .max_flat_workgroup_size: 240
    .name:           fft_rtc_fwd_len1920_factors_10_6_16_2_wgs_240_tpt_120_halfLds_dp_op_CI_CI_sbrr_dirReg
    .private_segment_fixed_size: 0
    .sgpr_count:     38
    .sgpr_spill_count: 0
    .symbol:         fft_rtc_fwd_len1920_factors_10_6_16_2_wgs_240_tpt_120_halfLds_dp_op_CI_CI_sbrr_dirReg.kd
    .uniform_work_group_size: 1
    .uses_dynamic_stack: false
    .vgpr_count:     167
    .vgpr_spill_count: 0
    .wavefront_size: 64
amdhsa.target:   amdgcn-amd-amdhsa--gfx950
amdhsa.version:
  - 1
  - 2
...

	.end_amdgpu_metadata
